;; amdgpu-corpus repo=ROCm/rocFFT kind=compiled arch=gfx1201 opt=O3
	.text
	.amdgcn_target "amdgcn-amd-amdhsa--gfx1201"
	.amdhsa_code_object_version 6
	.protected	bluestein_single_fwd_len165_dim1_half_op_CI_CI ; -- Begin function bluestein_single_fwd_len165_dim1_half_op_CI_CI
	.globl	bluestein_single_fwd_len165_dim1_half_op_CI_CI
	.p2align	8
	.type	bluestein_single_fwd_len165_dim1_half_op_CI_CI,@function
bluestein_single_fwd_len165_dim1_half_op_CI_CI: ; @bluestein_single_fwd_len165_dim1_half_op_CI_CI
; %bb.0:
	s_load_b128 s[12:15], s[0:1], 0x28
	v_mul_u32_u24_e32 v1, 0x1746, v0
	s_mov_b32 s2, exec_lo
	s_delay_alu instid0(VALU_DEP_1) | instskip(NEXT) | instid1(VALU_DEP_1)
	v_lshrrev_b32_e32 v1, 16, v1
	v_mad_co_u64_u32 v[10:11], null, ttmp9, 5, v[1:2]
	v_mov_b32_e32 v11, 0
	s_wait_kmcnt 0x0
	s_delay_alu instid0(VALU_DEP_1)
	v_cmpx_gt_u64_e64 s[12:13], v[10:11]
	s_cbranch_execz .LBB0_15
; %bb.1:
	s_clause 0x1
	s_load_b128 s[4:7], s[0:1], 0x18
	s_load_b64 s[12:13], s[0:1], 0x0
	v_mul_lo_u16 v1, v1, 11
	v_mul_hi_u32 v8, 0xcccccccd, v10
	s_delay_alu instid0(VALU_DEP_2) | instskip(NEXT) | instid1(VALU_DEP_2)
	v_sub_nc_u16 v7, v0, v1
	v_lshrrev_b32_e32 v8, 2, v8
	s_delay_alu instid0(VALU_DEP_2) | instskip(NEXT) | instid1(VALU_DEP_2)
	v_and_b32_e32 v60, 0xffff, v7
	v_lshl_add_u32 v8, v8, 2, v8
	s_wait_kmcnt 0x0
	s_load_b128 s[8:11], s[4:5], 0x0
	s_delay_alu instid0(VALU_DEP_1) | instskip(NEXT) | instid1(VALU_DEP_1)
	v_sub_nc_u32_e32 v8, v10, v8
	v_mul_u32_u24_e32 v8, 0xa5, v8
	s_delay_alu instid0(VALU_DEP_1) | instskip(SKIP_4) | instid1(VALU_DEP_1)
	v_lshlrev_b32_e32 v69, 2, v8
	s_wait_kmcnt 0x0
	v_mad_co_u64_u32 v[0:1], null, s10, v10, 0
	v_mad_co_u64_u32 v[2:3], null, s8, v60, 0
	s_mul_u64 s[2:3], s[8:9], 15
	v_mad_co_u64_u32 v[4:5], null, s11, v10, v[1:2]
	s_load_b64 s[10:11], s[0:1], 0x38
	s_delay_alu instid0(VALU_DEP_1) | instskip(NEXT) | instid1(VALU_DEP_3)
	v_mov_b32_e32 v1, v4
	v_mad_co_u64_u32 v[5:6], null, s9, v60, v[3:4]
	v_lshlrev_b32_e32 v32, 2, v60
	v_or_b32_e32 v44, 56, v60
	s_delay_alu instid0(VALU_DEP_4)
	v_lshlrev_b64_e32 v[0:1], 2, v[0:1]
	v_or_b32_e32 v43, 0x74, v60
	v_mov_b32_e32 v3, v5
	s_clause 0x9
	global_load_b32 v65, v32, s[12:13]
	global_load_b32 v63, v32, s[12:13] offset:60
	global_load_b32 v61, v32, s[12:13] offset:120
	;; [unrolled: 1-line block ×9, first 2 shown]
	v_add_nc_u32_e32 v42, v32, v69
	v_lshlrev_b64_e32 v[4:5], 2, v[2:3]
	v_add_co_u32 v2, vcc_lo, s14, v0
	v_add_co_ci_u32_e32 v3, vcc_lo, s15, v1, vcc_lo
	s_lshl_b64 s[14:15], s[2:3], 2
	s_delay_alu instid0(VALU_DEP_2) | instskip(SKIP_1) | instid1(VALU_DEP_2)
	v_add_co_u32 v0, vcc_lo, v2, v4
	s_wait_alu 0xfffd
	v_add_co_ci_u32_e32 v1, vcc_lo, v3, v5, vcc_lo
	v_add_co_u32 v8, s2, s12, v32
	s_wait_alu 0xfffe
	v_add_co_u32 v4, vcc_lo, v0, s14
	s_wait_alu 0xfffd
	v_add_co_ci_u32_e32 v5, vcc_lo, s15, v1, vcc_lo
	global_load_b32 v6, v[0:1], off
	v_add_co_u32 v0, vcc_lo, v4, s14
	s_wait_alu 0xfffd
	v_add_co_ci_u32_e32 v1, vcc_lo, s15, v5, vcc_lo
	global_load_b32 v11, v[4:5], off
	global_load_b32 v45, v32, s[12:13] offset:600
	global_load_b32 v12, v[0:1], off
	v_add_co_u32 v0, vcc_lo, v0, s14
	s_wait_alu 0xfffd
	v_add_co_ci_u32_e32 v1, vcc_lo, s15, v1, vcc_lo
	v_add_co_ci_u32_e64 v9, null, s13, 0, s2
	s_delay_alu instid0(VALU_DEP_3) | instskip(SKIP_1) | instid1(VALU_DEP_3)
	v_add_co_u32 v4, vcc_lo, v0, s14
	s_wait_alu 0xfffd
	v_add_co_ci_u32_e32 v5, vcc_lo, s15, v1, vcc_lo
	global_load_b32 v13, v[0:1], off
	v_add_co_u32 v0, vcc_lo, v4, s14
	s_wait_alu 0xfffd
	v_add_co_ci_u32_e32 v1, vcc_lo, s15, v5, vcc_lo
	global_load_b32 v14, v[4:5], off
	global_load_b32 v15, v[0:1], off
	v_add_co_u32 v0, vcc_lo, v0, s14
	s_wait_alu 0xfffd
	v_add_co_ci_u32_e32 v1, vcc_lo, s15, v1, vcc_lo
	s_delay_alu instid0(VALU_DEP_2) | instskip(SKIP_1) | instid1(VALU_DEP_2)
	v_add_co_u32 v4, vcc_lo, v0, s14
	s_wait_alu 0xfffd
	v_add_co_ci_u32_e32 v5, vcc_lo, s15, v1, vcc_lo
	global_load_b32 v16, v[0:1], off
	v_add_co_u32 v0, vcc_lo, v4, s14
	s_wait_alu 0xfffd
	v_add_co_ci_u32_e32 v1, vcc_lo, s15, v5, vcc_lo
	global_load_b32 v17, v[4:5], off
	;; [unrolled: 4-line block ×4, first 2 shown]
	global_load_b32 v5, v[0:1], off
	v_cmp_gt_u16_e32 vcc_lo, 4, v7
	s_load_b128 s[4:7], s[6:7], 0x0
	s_wait_loadcnt 0x15
	v_lshrrev_b32_e32 v67, 16, v65
	s_wait_loadcnt 0x14
	v_lshrrev_b32_e32 v66, 16, v63
	;; [unrolled: 2-line block ×11, first 2 shown]
	v_mul_f16_e32 v19, v67, v6
	s_wait_loadcnt 0xa
	v_lshrrev_b32_e32 v21, 16, v11
	s_delay_alu instid0(VALU_DEP_3)
	v_mul_f16_e32 v20, v67, v7
	v_mul_f16_e32 v22, v66, v11
	v_fma_f16 v7, v65, v7, -v19
	s_wait_loadcnt 0x8
	v_lshrrev_b32_e32 v19, 16, v12
	v_lshrrev_b32_e32 v47, 16, v45
	v_fmac_f16_e32 v20, v65, v6
	v_mul_f16_e32 v6, v66, v21
	v_fma_f16 v21, v63, v21, -v22
	v_mul_f16_e32 v22, v64, v12
	s_delay_alu instid0(VALU_DEP_4) | instskip(NEXT) | instid1(VALU_DEP_4)
	v_pack_b32_f16 v7, v20, v7
	v_fmac_f16_e32 v6, v63, v11
	v_mul_f16_e32 v11, v64, v19
	s_wait_loadcnt 0x7
	v_lshrrev_b32_e32 v20, 16, v13
	v_mul_f16_e32 v23, v62, v13
	v_fma_f16 v19, v61, v19, -v22
	v_pack_b32_f16 v6, v6, v21
	v_fmac_f16_e32 v11, v61, v12
	v_mul_f16_e32 v12, v62, v20
	s_wait_loadcnt 0x6
	v_lshrrev_b32_e32 v21, 16, v14
	v_fma_f16 v20, v58, v20, -v23
	v_mul_f16_e32 v22, v59, v14
	ds_store_2addr_b32 v42, v7, v6 offset1:15
	v_pack_b32_f16 v6, v11, v19
	v_fmac_f16_e32 v12, v58, v13
	v_mul_f16_e32 v7, v59, v21
	s_wait_loadcnt 0x5
	v_lshrrev_b32_e32 v11, 16, v15
	v_mul_f16_e32 v13, v57, v15
	v_fma_f16 v19, v56, v21, -v22
	v_pack_b32_f16 v12, v12, v20
	v_fmac_f16_e32 v7, v56, v14
	v_mul_f16_e32 v14, v57, v11
	v_fma_f16 v11, v55, v11, -v13
	s_wait_loadcnt 0x4
	v_lshrrev_b32_e32 v13, 16, v16
	ds_store_2addr_b32 v42, v6, v12 offset0:30 offset1:45
	v_pack_b32_f16 v6, v7, v19
	v_fmac_f16_e32 v14, v55, v15
	s_wait_loadcnt 0x3
	v_lshrrev_b32_e32 v7, 16, v17
	v_mul_f16_e32 v12, v54, v13
	v_mul_f16_e32 v15, v52, v17
	;; [unrolled: 1-line block ×3, first 2 shown]
	v_pack_b32_f16 v11, v14, v11
	v_mul_f16_e32 v14, v52, v7
	v_fmac_f16_e32 v12, v53, v16
	s_wait_loadcnt 0x2
	v_lshrrev_b32_e32 v16, 16, v18
	v_fma_f16 v7, v51, v7, -v15
	v_mul_f16_e32 v15, v50, v18
	v_fmac_f16_e32 v14, v51, v17
	s_wait_loadcnt 0x1
	v_lshrrev_b32_e32 v17, 16, v4
	v_fma_f16 v13, v53, v13, -v20
	s_wait_loadcnt 0x0
	v_lshrrev_b32_e32 v20, 16, v5
	v_mul_f16_e32 v19, v50, v16
	v_fma_f16 v15, v49, v16, -v15
	v_mul_f16_e32 v16, v48, v4
	v_mul_f16_e32 v21, v48, v17
	;; [unrolled: 1-line block ×4, first 2 shown]
	v_fmac_f16_e32 v19, v49, v18
	v_fma_f16 v16, v46, v17, -v16
	v_fmac_f16_e32 v21, v46, v4
	v_fma_f16 v4, v45, v20, -v22
	v_fmac_f16_e32 v23, v45, v5
	v_pack_b32_f16 v5, v12, v13
	v_pack_b32_f16 v7, v14, v7
	;; [unrolled: 1-line block ×5, first 2 shown]
	ds_store_2addr_b32 v42, v6, v11 offset0:60 offset1:75
	ds_store_2addr_b32 v42, v5, v7 offset0:90 offset1:105
	;; [unrolled: 1-line block ×3, first 2 shown]
	ds_store_b32 v42, v4 offset:600
	s_and_saveexec_b32 s3, vcc_lo
	s_cbranch_execz .LBB0_3
; %bb.2:
	v_mad_co_u64_u32 v[0:1], null, 0xfffffdd4, s8, v[0:1]
	v_mad_co_u64_u32 v[4:5], null, s8, v44, 0
	;; [unrolled: 1-line block ×3, first 2 shown]
	s_mul_i32 s2, s9, 0xfffffdd4
	s_wait_alu 0xfffe
	s_sub_co_i32 s2, s2, s8
	s_wait_alu 0xfffe
	s_delay_alu instid0(VALU_DEP_3) | instskip(NEXT) | instid1(VALU_DEP_2)
	v_add_nc_u32_e32 v1, s2, v1
	v_mad_co_u64_u32 v[11:12], null, s9, v44, v[5:6]
	s_delay_alu instid0(VALU_DEP_3) | instskip(SKIP_3) | instid1(VALU_DEP_3)
	v_mov_b32_e32 v5, v7
	v_add_co_u32 v12, s2, v0, s14
	s_wait_alu 0xf1ff
	v_add_co_ci_u32_e64 v13, s2, s15, v1, s2
	v_mad_co_u64_u32 v[14:15], null, s9, v43, v[5:6]
	s_delay_alu instid0(VALU_DEP_3)
	v_add_co_u32 v15, s2, v12, s14
	v_mov_b32_e32 v5, v11
	s_wait_alu 0xf1ff
	v_add_co_ci_u32_e64 v16, s2, s15, v13, s2
	global_load_b32 v11, v[0:1], off
	global_load_b32 v12, v[12:13], off
	v_mov_b32_e32 v7, v14
	v_lshlrev_b64_e32 v[0:1], 2, v[4:5]
	v_mad_co_u64_u32 v[4:5], null, 0x78, s8, v[15:16]
	s_mulk_i32 s9, 0x78
	s_delay_alu instid0(VALU_DEP_3)
	v_lshlrev_b64_e32 v[6:7], 2, v[6:7]
	s_clause 0x9
	global_load_b32 v13, v[8:9], off offset:44
	global_load_b32 v14, v[8:9], off offset:104
	;; [unrolled: 1-line block ×10, first 2 shown]
	v_add_co_u32 v0, s2, v2, v0
	s_wait_alu 0xf1ff
	v_add_co_ci_u32_e64 v1, s2, v3, v1, s2
	s_wait_alu 0xfffe
	v_add_nc_u32_e32 v5, s9, v5
	global_load_b32 v15, v[15:16], off
	global_load_b32 v16, v[0:1], off
	;; [unrolled: 1-line block ×3, first 2 shown]
	global_load_b32 v26, v[8:9], off offset:644
	v_add_co_u32 v0, s2, v2, v6
	s_wait_alu 0xf1ff
	v_add_co_ci_u32_e64 v1, s2, v3, v7, s2
	v_add_co_u32 v2, s2, v4, s14
	s_wait_alu 0xf1ff
	v_add_co_ci_u32_e64 v3, s2, s15, v5, s2
	global_load_b32 v6, v[0:1], off
	v_add_co_u32 v0, s2, v2, s14
	s_wait_alu 0xf1ff
	v_add_co_ci_u32_e64 v1, s2, s15, v3, s2
	global_load_b32 v7, v[2:3], off
	v_mad_co_u64_u32 v[2:3], null, 0x78, s8, v[0:1]
	global_load_b32 v27, v[0:1], off
	v_add_nc_u32_e32 v3, s9, v3
	v_add_co_u32 v0, s2, v2, s14
	s_wait_alu 0xf1ff
	s_delay_alu instid0(VALU_DEP_2) | instskip(NEXT) | instid1(VALU_DEP_2)
	v_add_co_ci_u32_e64 v1, s2, s15, v3, s2
	v_add_co_u32 v4, s2, v0, s14
	s_wait_alu 0xf1ff
	s_delay_alu instid0(VALU_DEP_2)
	v_add_co_ci_u32_e64 v5, s2, s15, v1, s2
	global_load_b32 v2, v[2:3], off
	global_load_b32 v0, v[0:1], off
	;; [unrolled: 1-line block ×3, first 2 shown]
	s_wait_loadcnt 0x13
	v_lshrrev_b32_e32 v3, 16, v13
	s_wait_loadcnt 0x12
	v_lshrrev_b32_e32 v4, 16, v14
	v_lshrrev_b32_e32 v34, 16, v11
	;; [unrolled: 1-line block ×3, first 2 shown]
	s_wait_loadcnt 0x11
	v_lshrrev_b32_e32 v5, 16, v17
	v_mul_f16_e32 v36, v3, v11
	v_mul_f16_e32 v39, v4, v12
	;; [unrolled: 1-line block ×4, first 2 shown]
	s_wait_loadcnt 0xf
	v_lshrrev_b32_e32 v29, 16, v19
	v_fma_f16 v34, v13, v34, -v36
	v_lshrrev_b32_e32 v28, 16, v18
	v_fmac_f16_e32 v3, v13, v11
	v_fma_f16 v11, v14, v37, -v39
	s_wait_loadcnt 0x9
	v_lshrrev_b32_e32 v36, 16, v15
	v_mul_f16_e32 v13, v5, v15
	v_fmac_f16_e32 v4, v14, v12
	v_lshrrev_b32_e32 v30, 16, v20
	v_pack_b32_f16 v3, v3, v34
	v_mul_f16_e32 v5, v5, v36
	v_fma_f16 v13, v17, v36, -v13
	v_pack_b32_f16 v4, v4, v11
	s_wait_loadcnt 0x7
	v_lshrrev_b32_e32 v11, 16, v25
	v_mul_f16_e32 v14, v29, v25
	v_fmac_f16_e32 v5, v17, v15
	v_lshrrev_b32_e32 v15, 16, v16
	v_lshrrev_b32_e32 v31, 16, v21
	;; [unrolled: 1-line block ×3, first 2 shown]
	v_mul_f16_e32 v17, v28, v16
	s_wait_loadcnt 0x5
	v_lshrrev_b32_e32 v34, 16, v6
	ds_store_2addr_b32 v42, v3, v4 offset0:11 offset1:26
	v_pack_b32_f16 v3, v5, v13
	v_mul_f16_e32 v4, v29, v11
	v_fma_f16 v5, v19, v11, -v14
	s_wait_loadcnt 0x4
	v_lshrrev_b32_e32 v11, 16, v7
	v_mul_f16_e32 v13, v30, v7
	v_mul_f16_e32 v14, v28, v15
	v_lshrrev_b32_e32 v35, 16, v23
	v_fma_f16 v15, v18, v15, -v17
	v_mul_f16_e32 v17, v33, v34
	v_fmac_f16_e32 v4, v19, v25
	v_mul_f16_e32 v19, v30, v11
	v_fma_f16 v11, v20, v11, -v13
	s_wait_loadcnt 0x3
	v_lshrrev_b32_e32 v13, 16, v27
	v_mul_f16_e32 v25, v31, v27
	v_fmac_f16_e32 v14, v18, v16
	v_lshrrev_b32_e32 v38, 16, v24
	v_mul_f16_e32 v36, v33, v6
	v_fmac_f16_e32 v17, v22, v6
	v_fmac_f16_e32 v19, v20, v7
	v_pack_b32_f16 v4, v4, v5
	v_mul_f16_e32 v5, v31, v13
	v_fma_f16 v6, v21, v13, -v25
	v_pack_b32_f16 v7, v14, v15
	s_wait_loadcnt 0x2
	v_lshrrev_b32_e32 v13, 16, v2
	v_mul_f16_e32 v14, v35, v2
	s_wait_loadcnt 0x1
	v_lshrrev_b32_e32 v15, 16, v0
	v_lshrrev_b32_e32 v12, 16, v26
	s_wait_loadcnt 0x0
	v_lshrrev_b32_e32 v16, 16, v1
	v_pack_b32_f16 v11, v19, v11
	v_mul_f16_e32 v18, v35, v13
	v_fma_f16 v13, v23, v13, -v14
	v_mul_f16_e32 v14, v38, v0
	v_mul_f16_e32 v19, v38, v15
	;; [unrolled: 1-line block ×4, first 2 shown]
	v_fma_f16 v28, v22, v34, -v36
	v_fmac_f16_e32 v5, v21, v27
	v_fmac_f16_e32 v18, v23, v2
	v_fma_f16 v2, v24, v15, -v14
	v_fmac_f16_e32 v19, v24, v0
	v_fmac_f16_e32 v20, v26, v1
	v_fma_f16 v0, v26, v16, -v12
	v_pack_b32_f16 v1, v5, v6
	v_pack_b32_f16 v5, v17, v28
	v_pack_b32_f16 v6, v18, v13
	v_pack_b32_f16 v2, v19, v2
	v_pack_b32_f16 v0, v20, v0
	ds_store_2addr_b32 v42, v3, v7 offset0:41 offset1:56
	ds_store_2addr_b32 v42, v4, v11 offset0:71 offset1:86
	;; [unrolled: 1-line block ×4, first 2 shown]
	ds_store_b32 v42, v0 offset:644
.LBB0_3:
	s_wait_alu 0xfffe
	s_or_b32 exec_lo, exec_lo, s3
	global_wb scope:SCOPE_SE
	s_wait_dscnt 0x0
	s_wait_kmcnt 0x0
	s_barrier_signal -1
	s_barrier_wait -1
	global_inv scope:SCOPE_SE
	ds_load_2addr_b32 v[13:14], v42 offset1:15
	ds_load_2addr_b32 v[22:23], v42 offset0:30 offset1:45
	ds_load_2addr_b32 v[18:19], v42 offset0:60 offset1:75
	;; [unrolled: 1-line block ×4, first 2 shown]
	ds_load_b32 v110, v42 offset:600
	s_load_b64 s[2:3], s[0:1], 0x8
	v_mov_b32_e32 v0, 0
                                        ; implicit-def: $vgpr4
                                        ; implicit-def: $vgpr7
                                        ; implicit-def: $vgpr2
                                        ; implicit-def: $vgpr17
                                        ; implicit-def: $vgpr26
	s_and_saveexec_b32 s0, vcc_lo
	s_cbranch_execz .LBB0_5
; %bb.4:
	ds_load_2addr_b32 v[0:1], v42 offset0:11 offset1:26
	ds_load_2addr_b32 v[16:17], v42 offset0:41 offset1:56
	;; [unrolled: 1-line block ×5, first 2 shown]
	ds_load_b32 v26, v42 offset:644
.LBB0_5:
	s_wait_alu 0xfffe
	s_or_b32 exec_lo, exec_lo, s0
	s_wait_dscnt 0x0
	v_pk_add_f16 v11, v1, v26 neg_lo:[0,1] neg_hi:[0,1]
	v_pk_add_f16 v34, v26, v1
	v_pk_add_f16 v12, v16, v3 neg_lo:[0,1] neg_hi:[0,1]
	v_pk_add_f16 v82, v3, v16
	v_lshrrev_b32_e32 v91, 16, v0
	v_lshrrev_b32_e32 v15, 16, v11
	v_lshrrev_b32_e32 v80, 16, v34
	v_mul_f16_e32 v39, 0xbbeb, v11
	v_lshrrev_b32_e32 v31, 16, v12
	v_mul_f16_e32 v35, 0xbb47, v11
	v_mul_f16_e32 v27, 0xb853, v15
	;; [unrolled: 1-line block ×5, first 2 shown]
	v_fma_f16 v74, v80, 0xb08e, -v39
	v_lshrrev_b32_e32 v83, 16, v82
	v_mul_f16_e32 v79, 0x3482, v12
	v_mul_f16_e32 v94, 0x3beb, v31
	v_fma_f16 v75, v34, 0xb93d, -v15
	v_mul_f16_e32 v28, 0xba0c, v11
	v_fma_f16 v70, v80, 0x36a6, -v35
	v_fmac_f16_e32 v15, 0xb93d, v34
	v_mul_f16_e32 v37, 0xba0c, v12
	v_pk_add_f16 v96, v17, v2 neg_lo:[0,1] neg_hi:[0,1]
	v_fma_f16 v95, v83, 0xbbad, -v79
	v_fma_f16 v98, v82, 0xb08e, -v94
	v_pk_add_f16 v85, v2, v17
	v_add_f16_e32 v74, v74, v91
	v_add_f16_e32 v75, v75, v0
	v_pk_mul_f16 v101, 0xb482b853, v11
	v_fmamk_f16 v68, v34, 0x3abb, v27
	v_fmamk_f16 v71, v34, 0x36a6, v30
	;; [unrolled: 1-line block ×3, first 2 shown]
	v_fma_f16 v77, v80, 0xb93d, -v28
	v_mul_f16_e32 v33, 0xb482, v11
	v_mul_f16_e32 v28, 0xbb47, v31
	;; [unrolled: 1-line block ×3, first 2 shown]
	v_fma_f16 v89, v83, 0xb93d, -v37
	v_lshrrev_b32_e32 v36, 16, v96
	v_fmac_f16_e32 v94, 0xb08e, v82
	v_lshrrev_b32_e32 v86, 16, v85
	v_pk_add_f16 v112, v6, v5 neg_lo:[0,1] neg_hi:[0,1]
	v_mul_f16_e32 v90, 0xb853, v96
	v_add_f16_e32 v70, v70, v91
	v_add_f16_e32 v11, v95, v74
	;; [unrolled: 1-line block ×4, first 2 shown]
	v_pk_fma_f16 v75, 0x3abbbbad, v34, v101 op_sel:[0,0,1] op_sel_hi:[1,1,0] neg_lo:[0,0,1] neg_hi:[0,0,1]
	v_pk_mul_f16 v100, 0x3853bb47, v12
	v_fmamk_f16 v72, v34, 0xb08e, v38
	v_fmamk_f16 v102, v80, 0xbbad, v33
	v_fma_f16 v78, v80, 0xbbad, -v33
	v_fmamk_f16 v87, v82, 0x36a6, v28
	v_fmamk_f16 v88, v82, 0xb93d, v29
	v_mul_f16_e32 v40, 0x3482, v31
	v_mul_f16_e32 v31, 0x3beb, v12
	;; [unrolled: 1-line block ×6, first 2 shown]
	v_lshrrev_b32_e32 v115, 16, v112
	v_fmamk_f16 v117, v86, 0x3abb, v90
	v_pk_add_f16 v92, v5, v6
	v_fma_f16 v119, v86, 0x3abb, -v90
	v_add_f16_e32 v90, v68, v0
	v_add_f16_e32 v71, v71, v0
	;; [unrolled: 1-line block ×3, first 2 shown]
	v_pk_add_f16 v75, v75, v0
	v_add_f16_e32 v89, v94, v15
	v_pk_fma_f16 v15, 0x36a63abb, v82, v100 op_sel:[0,0,1] op_sel_hi:[1,1,0] neg_lo:[0,0,1] neg_hi:[0,0,1]
	v_pk_add_f16 v126, v7, v4 neg_lo:[0,1] neg_hi:[0,1]
	v_fmamk_f16 v93, v82, 0xbbad, v40
	v_fmamk_f16 v99, v83, 0xb08e, v31
	v_fma_f16 v103, v83, 0xb08e, -v31
	v_mul_f16_e32 v31, 0xbbeb, v36
	v_fma_f16 v104, v83, 0x3abb, -v109
	v_fmamk_f16 v106, v85, 0xbbad, v33
	v_fma_f16 v107, v86, 0xbbad, -v41
	v_mul_f16_e32 v81, 0x3b47, v36
	v_mul_f16_e32 v84, 0x3b47, v96
	v_fma_f16 v116, v85, 0x3abb, -v108
	v_mul_f16_e32 v118, 0xba0c, v96
	v_fmac_f16_e32 v108, 0x3abb, v85
	v_mul_f16_e32 v68, 0x3beb, v115
	v_lshrrev_b32_e32 v97, 16, v92
	v_add_f16_e32 v87, v87, v90
	v_mul_f16_e32 v90, 0x3beb, v112
	v_add_f16_e32 v72, v72, v0
	v_add_f16_e32 v71, v88, v71
	;; [unrolled: 1-line block ×4, first 2 shown]
	v_pk_add_f16 v75, v15, v75
	v_lshrrev_b32_e32 v15, 16, v126
	v_fmamk_f16 v105, v85, 0xb08e, v31
	v_fmamk_f16 v113, v85, 0x36a6, v81
	v_fma_f16 v114, v86, 0x36a6, -v84
	v_mul_f16_e32 v36, 0xba0c, v115
	v_fma_f16 v121, v86, 0xb93d, -v118
	v_fmamk_f16 v123, v92, 0xb08e, v68
	v_fma_f16 v124, v97, 0xb08e, -v90
	v_add_f16_e32 v72, v93, v72
	v_mul_f16_e32 v93, 0xb853, v115
	v_mul_f16_e32 v95, 0xb853, v112
	v_add_f16_e32 v76, v99, v76
	v_add_f16_e32 v77, v77, v91
	v_mul_f16_e32 v98, 0xb482, v115
	v_mul_f16_e32 v88, 0xb482, v112
	v_add_f16_e32 v78, v104, v78
	v_add_f16_e32 v71, v106, v71
	;; [unrolled: 1-line block ×3, first 2 shown]
	v_pk_mul_f16 v104, 0xba0cbbeb, v96
	v_pk_add_f16 v106, v4, v7
	v_add_f16_e32 v96, v108, v89
	v_mul_f16_e32 v89, 0x3853, v15
	v_pk_add_f16 v73, v13, v14
	v_fmamk_f16 v122, v92, 0xb93d, v36
	v_fmamk_f16 v12, v92, 0x3abb, v93
	v_add_f16_e32 v77, v103, v77
	v_fma_f16 v99, v97, 0x3abb, -v95
	v_fma_f16 v115, v92, 0xbbad, -v98
	v_add_f16_e32 v87, v105, v87
	v_fmamk_f16 v125, v97, 0xbbad, v88
	v_fma_f16 v127, v97, 0xbbad, -v88
	v_mul_f16_e64 v128, 0x3b47, v112
	v_add_f16_e32 v72, v113, v72
	v_add_f16_e32 v11, v114, v11
	;; [unrolled: 1-line block ×3, first 2 shown]
	v_mul_f16_e32 v88, 0xb482, v15
	v_add_f16_e32 v76, v117, v76
	v_pk_fma_f16 v94, 0xb08eb93d, v85, v104 op_sel:[0,0,1] op_sel_hi:[1,1,0] neg_lo:[0,0,1] neg_hi:[0,0,1]
	v_add_f16_e32 v117, v121, v78
	v_add_f16_e32 v71, v123, v71
	;; [unrolled: 1-line block ×3, first 2 shown]
	v_fmamk_f16 v70, v106, 0x3abb, v89
	v_pk_mul_f16 v107, 0x3b47ba0c, v112
	v_mul_f16_e32 v111, 0x3abb, v83
	v_fmac_f16_e32 v98, 0xbbad, v92
	v_add_f16_e32 v77, v119, v77
	v_fma_f16 v114, v97, 0x36a6, -v128
	v_pk_add_f16 v75, v94, v75
	v_fmamk_f16 v116, v106, 0xbbad, v88
	v_add_f16_e32 v119, v122, v87
	v_add_f16_e32 v72, v12, v72
	;; [unrolled: 1-line block ×5, first 2 shown]
	v_pk_fma_f16 v70, 0xb93d36a6, v92, v107 op_sel:[0,0,1] op_sel_hi:[1,1,0] neg_lo:[0,0,1] neg_hi:[0,0,1]
	v_pk_fma_f16 v115, 0x3abbbbad, v34, v101 op_sel:[0,0,1] op_sel_hi:[1,1,0]
	v_pk_mul_f16 v99, 0x36a63abb, v82
	v_pk_add_f16 v73, v73, v22
	v_lshrrev_b32_e32 v108, 16, v106
	v_add_f16_e32 v74, v125, v76
	v_add_f16_e32 v87, v98, v96
	v_mul_f16_e32 v76, 0x3b47, v126
	v_pk_add_f16 v75, v70, v75
	v_add_f16_e32 v114, v114, v117
	v_add_f16_e32 v70, v116, v119
	v_pk_mul_f16 v98, 0xb08eb93d, v85
	v_pack_b32_f16 v115, v109, v115
	v_perm_b32 v111, v0, v111, 0x5040100
	v_pack_b32_f16 v116, v102, v99
	v_perm_b32 v117, v100, v0, 0x7060302
	v_pk_add_f16 v73, v73, v23
	v_mul_f16_e32 v120, 0xb93d, v86
	v_add_f16_e32 v77, v127, v77
	v_fmamk_f16 v112, v108, 0x36a6, v76
	v_fma_f16 v76, v108, 0x36a6, -v76
	v_pk_add_f16 v111, v115, v111
	v_pk_add_f16 v115, v116, v117
	v_pack_b32_f16 v117, v118, v98
	v_pk_add_f16 v118, v73, v18
	v_mul_f16_e32 v113, 0x36a6, v97
	v_pk_mul_f16 v96, 0xb93d36a6, v92
	v_bfi_b32 v119, 0xffff, v120, v104
	v_add_f16_e32 v73, v76, v77
	v_pk_add_f16 v77, v118, v19
	v_pk_mul_f16 v109, 0xbbebb482, v126
	v_add_f16_e32 v74, v112, v74
	v_pk_add_f16 v76, v115, v111
	v_pk_add_f16 v111, v117, v119
	v_pack_b32_f16 v112, v128, v96
	v_bfi_b32 v113, 0xffff, v113, v107
	v_pk_add_f16 v77, v77, v20
	v_pk_fma_f16 v116, 0xbbadb08e, v106, v109 op_sel:[0,0,1] op_sel_hi:[1,1,0] neg_lo:[0,0,1] neg_hi:[0,0,1]
	v_pk_add_f16 v76, v111, v76
	v_pk_mul_f16 v102, 0xbbadb08e, v106
	v_pk_add_f16 v111, v112, v113
	v_pk_add_f16 v113, v77, v21
	v_mul_f16_e32 v115, 0xbbeb, v126
	v_mul_f16_e32 v117, 0xb08e, v108
	v_pk_add_f16 v77, v116, v75
	v_pk_add_f16 v75, v111, v76
	;; [unrolled: 1-line block ×3, first 2 shown]
	v_pack_b32_f16 v112, v115, v102
	v_pk_add_f16 v118, v14, v110 neg_lo:[0,1] neg_hi:[0,1]
	v_bfi_b32 v117, 0xffff, v117, v109
	v_fma_f16 v113, v108, 0xb08e, -v115
	v_pk_add_f16 v115, v76, v25
	v_mul_f16_e32 v103, 0xba0c, v15
	v_lshrrev_b32_e32 v111, 16, v118
	v_pk_add_f16 v112, v112, v117
	v_pk_add_f16 v14, v110, v14
	;; [unrolled: 1-line block ×4, first 2 shown]
	v_pk_add_f16 v22, v22, v25 neg_lo:[0,1] neg_hi:[0,1]
	v_mul_f16_e32 v94, 0x3853, v126
	v_mul_f16_e32 v105, 0xba0c, v126
	v_fmamk_f16 v11, v106, 0xb93d, v103
	v_mul_f16_e32 v116, 0xb853, v111
	v_pk_add_f16 v75, v112, v75
	v_pk_mul_f16 v112, 0x3abb36a6, v14
	v_lshrrev_b32_e32 v127, 16, v22
	v_fma_f16 v123, v108, 0x3abb, -v94
	v_add_f16_e32 v11, v11, v72
	v_fma_f16 v72, v108, 0xb93d, -v105
	v_add_f16_e32 v76, v113, v114
	v_fma_f16 v113, v14, 0x3abb, -v116
	v_pk_fma_f16 v114, 0xbb47b853, v118, v112 op_sel:[0,0,1] op_sel_hi:[1,1,0] neg_lo:[0,1,0] neg_hi:[0,1,0]
	v_pk_fma_f16 v112, 0xbb47b853, v118, v112 op_sel:[0,0,1] op_sel_hi:[1,1,0]
	v_mul_f16_e32 v117, 0xbbeb, v111
	v_mul_f16_e32 v111, 0xba0c, v111
	v_pk_mul_f16 v119, 0xbbad, v14 op_sel_hi:[0,1]
	v_pk_mul_f16 v129, 0x36a6b93d, v115
	v_mul_f16_e64 v130, 0xbb47, v127
	v_add_f16_e32 v71, v123, v121
	v_add_f16_e32 v72, v72, v122
	v_fmac_f16_e32 v116, 0x3abb, v14
	v_pk_add_f16 v25, v24, v23
	v_pk_add_f16 v23, v23, v24 neg_lo:[0,1] neg_hi:[0,1]
	v_pk_add_f16 v24, v21, v18
	v_pk_add_f16 v18, v18, v21 neg_lo:[0,1] neg_hi:[0,1]
	;; [unrolled: 2-line block ×3, first 2 shown]
	v_bfi_b32 v20, 0xffff, v112, v114
	v_add_f16_e32 v113, v13, v113
	v_fma_f16 v120, v14, 0xb08e, -v117
	v_fmac_f16_e32 v117, 0xb08e, v14
	v_pk_fma_f16 v121, 0xb482, v118, v119 op_sel:[0,0,1] op_sel_hi:[0,1,0] neg_lo:[0,1,0] neg_hi:[0,1,0]
	v_fma_f16 v122, v14, 0xb93d, -v111
	v_fmac_f16_e32 v111, 0xb93d, v14
	v_pk_fma_f16 v119, 0xb482, v118, v119 op_sel:[0,0,1] op_sel_hi:[0,1,0]
	v_lshrrev_b32_e32 v14, 16, v14
	v_mul_f16_e32 v125, 0xbb47, v118
	v_mul_f16_e32 v126, 0xbbeb, v118
	;; [unrolled: 1-line block ×3, first 2 shown]
	v_pk_fma_f16 v132, 0xba0cbb47, v22, v129 op_sel:[0,0,1] op_sel_hi:[1,1,0] neg_lo:[0,1,0] neg_hi:[0,1,0]
	v_pk_fma_f16 v129, 0xba0cbb47, v22, v129 op_sel:[0,0,1] op_sel_hi:[1,1,0]
	v_fma_f16 v133, v115, 0x36a6, -v130
	v_add_f16_e32 v116, v13, v116
	v_pk_add_f16 v20, v13, v20 op_sel:[1,0] op_sel_hi:[0,1]
	v_lshrrev_b32_e32 v124, 16, v13
	v_fma_f16 v128, 0x36a6, v14, v125
	v_fma_f16 v125, v14, 0x36a6, -v125
	v_fma_f16 v131, 0xb08e, v14, v126
	v_fma_f16 v126, v14, 0xb08e, -v126
	;; [unrolled: 2-line block ×3, first 2 shown]
	v_fmac_f16_e64 v130, 0x36a6, v115
	v_bfi_b32 v118, 0xffff, v129, v132
	v_add_f16_e64 v113, v133, v113
	v_lshrrev_b32_e32 v133, 16, v115
	v_mul_f16_e64 v135, 0xba0c, v22
	v_alignbit_b32 v112, s0, v112, 16
	v_add_f16_e64 v116, v130, v116
	v_pk_add_f16 v20, v118, v20
	v_add_f16_e64 v118, v124, v128
	v_fma_f16 v130, 0xb93d, v133, v135
	v_pk_add_f16 v112, v13, v112
	v_alignbit_b32 v129, s0, v129, 16
	v_add_f16_e32 v125, v124, v125
	v_fma_f16 v135, v133, 0xb93d, -v135
	v_add_f16_e64 v118, v130, v118
	v_mul_f16_e64 v130, 0x3482, v22
	v_mul_f16_e64 v128, 0x3482, v127
	v_pk_add_f16 v112, v129, v112
	v_add_f16_e64 v125, v135, v125
	v_add_f16_e64 v129, v124, v131
	v_fma_f16 v131, 0xbbad, v133, v130
	v_mul_f16_e64 v135, 0x3beb, v22
	v_add_f16_e32 v126, v124, v126
	v_fma_f16 v130, v133, 0xbbad, -v130
	v_add_f16_e32 v120, v13, v120
	v_add_f16_e32 v117, v13, v117
	v_fma_f16 v136, v115, 0xbbad, -v128
	v_mul_f16_e32 v127, 0x3beb, v127
	v_fmac_f16_e64 v128, 0xbbad, v115
	v_add_f16_e64 v134, v124, v134
	v_fma_f16 v137, 0xb08e, v133, v135
	v_add_f16_e64 v126, v130, v126
	v_lshrrev_b32_e32 v130, 16, v23
	v_add_f16_e32 v111, v13, v111
	v_add_f16_e64 v120, v136, v120
	v_fma_f16 v136, v115, 0xb08e, -v127
	v_add_f16_e64 v129, v131, v129
	v_add_f16_e64 v117, v128, v117
	;; [unrolled: 1-line block ×3, first 2 shown]
	v_pk_mul_f16 v131, 0xb08ebbad, v25
	v_fmac_f16_e32 v127, 0xb08e, v115
	v_mul_f16_e64 v134, 0xbbeb, v130
	v_add_f16_e32 v122, v13, v122
	v_fma_f16 v133, v133, 0xb08e, -v135
	v_add_f16_e32 v14, v124, v14
	v_pk_fma_f16 v135, 0x3482bbeb, v23, v131 op_sel:[0,0,1] op_sel_hi:[1,1,0] neg_lo:[0,1,0] neg_hi:[0,1,0]
	v_pk_fma_f16 v131, 0x3482bbeb, v23, v131 op_sel:[0,0,1] op_sel_hi:[1,1,0]
	v_add_f16_e32 v111, v127, v111
	v_fma_f16 v127, v25, 0xb08e, -v134
	v_fmac_f16_e64 v134, 0xb08e, v25
	v_add_f16_e64 v122, v136, v122
	v_add_f16_e64 v14, v133, v14
	v_bfi_b32 v133, 0xffff, v131, v135
	v_lshrrev_b32_e32 v136, 16, v25
	v_mul_f16_e64 v137, 0x3482, v23
	v_add_f16_e32 v113, v127, v113
	v_add_f16_e64 v116, v134, v116
	v_mul_f16_e64 v127, 0x3b47, v130
	v_alignbit_b32 v131, s0, v131, 16
	v_mul_f16_e64 v134, 0x3b47, v23
	v_pk_add_f16 v20, v133, v20
	v_fma_f16 v133, 0xbbad, v136, v137
	v_fma_f16 v138, v25, 0x36a6, -v127
	v_pk_add_f16 v112, v131, v112
	v_fma_f16 v131, 0x36a6, v136, v134
	v_mul_f16_e64 v130, 0xb853, v130
	v_fmac_f16_e32 v127, 0x36a6, v25
	v_fma_f16 v137, v136, 0xbbad, -v137
	v_add_f16_e64 v118, v133, v118
	v_add_f16_e64 v129, v131, v129
	v_fma_f16 v131, v136, 0x36a6, -v134
	v_mul_f16_e64 v133, 0xb853, v23
	v_fma_f16 v134, v25, 0x3abb, -v130
	v_add_f16_e32 v117, v127, v117
	v_lshrrev_b32_e32 v127, 16, v18
	v_add_f16_e64 v125, v137, v125
	v_add_f16_e64 v126, v131, v126
	v_fma_f16 v131, 0x3abb, v136, v133
	v_add_f16_e64 v122, v134, v122
	v_fmac_f16_e64 v130, 0x3abb, v25
	v_mul_f16_e64 v134, 0xba0c, v127
	v_pk_mul_f16 v137, 0xb93db08e, v24
	v_add_f16_e64 v120, v138, v120
	v_add_f16_e64 v128, v131, v128
	v_fma_f16 v131, v136, 0x3abb, -v133
	v_add_f16_e64 v111, v130, v111
	v_fma_f16 v130, v24, 0xb93d, -v134
	v_pk_fma_f16 v133, 0x3bebba0c, v18, v137 op_sel:[0,0,1] op_sel_hi:[1,1,0] neg_lo:[0,1,0] neg_hi:[0,1,0]
	v_pk_fma_f16 v136, 0x3bebba0c, v18, v137 op_sel:[0,0,1] op_sel_hi:[1,1,0]
	v_lshrrev_b32_e32 v137, 16, v24
	v_mul_f16_e64 v138, 0x3beb, v18
	v_fmac_f16_e64 v134, 0xb93d, v24
	v_add_f16_e64 v14, v131, v14
	v_add_f16_e32 v114, v124, v114
	v_add_f16_e64 v113, v130, v113
	v_fma_f16 v131, 0xb08e, v137, v138
	v_add_f16_e64 v116, v134, v116
	v_fma_f16 v134, v137, 0xb08e, -v138
	v_mul_f16_e64 v138, 0xb853, v127
	v_mul_f16_e32 v127, 0xb482, v127
	v_add_f16_e64 v118, v131, v118
	v_bfi_b32 v130, 0xffff, v136, v133
	v_add_f16_e64 v125, v134, v125
	v_mul_f16_e64 v134, 0xb482, v18
	v_fma_f16 v131, v24, 0x3abb, -v138
	v_add_f16_e64 v114, v132, v114
	v_pk_add_f16 v20, v130, v20
	v_mul_f16_e64 v130, 0xb853, v18
	v_fma_f16 v140, 0xbbad, v137, v134
	v_add_f16_e64 v120, v131, v120
	v_fma_f16 v131, v24, 0xbbad, -v127
	v_fmac_f16_e32 v127, 0xbbad, v24
	v_add_f16_e64 v114, v135, v114
	v_add_f16_e64 v124, v140, v128
	v_lshrrev_b32_e32 v128, 16, v19
	v_add_f16_e64 v122, v131, v122
	v_fma_f16 v131, v137, 0xbbad, -v134
	v_add_f16_e32 v111, v127, v111
	v_pk_mul_f16 v127, 0xbbad3abb, v21
	v_mul_f16_e64 v132, 0xb482, v128
	v_fma_f16 v139, 0x3abb, v137, v130
	v_fma_f16 v130, v137, 0x3abb, -v130
	v_add_f16_e64 v14, v131, v14
	v_add_f16_e64 v114, v133, v114
	v_fma_f16 v131, v21, 0xbbad, -v132
	v_fmac_f16_e64 v132, 0xbbad, v21
	v_pk_fma_f16 v133, 0x3853b482, v19, v127 op_sel:[0,0,1] op_sel_hi:[1,1,0] neg_lo:[0,1,0] neg_hi:[0,1,0]
	v_pk_fma_f16 v134, 0x3853b482, v19, v127 op_sel:[0,0,1] op_sel_hi:[1,1,0]
	v_lshrrev_b32_e32 v135, 16, v21
	v_mul_f16_e64 v137, 0x3853, v19
	v_add_f16_e64 v113, v131, v113
	v_add_f16_e64 v116, v132, v116
	v_bfi_b32 v131, 0xffff, v134, v133
	v_add_f16_e64 v114, v133, v114
	v_fma_f16 v132, 0x3abb, v135, v137
	v_fma_f16 v133, v135, 0x3abb, -v137
	v_mul_f16_e64 v134, 0xba0c, v128
	v_mul_f16_e64 v137, 0xb93d, v135
	v_add_f16_e64 v129, v139, v129
	v_pk_add_f16 v20, v131, v20
	v_add_f16_e64 v118, v132, v118
	v_add_f16_e64 v125, v133, v125
	v_fma_f16 v131, v21, 0xb93d, -v134
	v_fma_f16 v132, 0xba0c, v19, v137
	v_mul_f16_e64 v128, 0x3b47, v128
	v_mul_f16_e64 v133, 0x3b47, v19
	v_alignbit_b32 v123, s0, v121, 16
	v_add_f16_e64 v120, v131, v120
	v_add_f16_e64 v129, v132, v129
	v_fma_f16 v131, v21, 0x36a6, -v128
	v_fma_f16 v132, 0x36a6, v135, v133
	v_fmac_f16_e64 v128, 0x36a6, v21
	v_fma_f16 v133, v135, 0x36a6, -v133
	v_pk_mul_f16 v115, 0x3abb, v115 op_sel_hi:[0,1]
	v_pk_add_f16 v123, v13, v123
	v_pk_add_f16 v119, v13, v119 op_sel:[1,0] op_sel_hi:[0,1]
	v_alignbit_b32 v13, s0, v13, 16
	v_add_f16_e64 v111, v128, v111
	v_add_f16_e64 v128, v133, v14
	v_pk_fma_f16 v14, 0x3853, v22, v115 op_sel:[0,0,1] op_sel_hi:[0,1,0] neg_lo:[0,1,0] neg_hi:[0,1,0]
	v_pk_fma_f16 v22, 0x3853, v22, v115 op_sel:[0,0,1] op_sel_hi:[0,1,0]
	v_pk_mul_f16 v25, 0xb93d, v25 op_sel_hi:[0,1]
	v_fmac_f16_e64 v138, 0x3abb, v24
	v_pk_add_f16 v13, v13, v121
	v_pk_mul_f16 v24, 0x36a6, v24 op_sel_hi:[0,1]
	v_pk_add_f16 v22, v22, v119
	v_pk_fma_f16 v119, 0xba0c, v23, v25 op_sel:[0,0,1] op_sel_hi:[0,1,0] neg_lo:[0,1,0] neg_hi:[0,1,0]
	v_pk_fma_f16 v23, 0xba0c, v23, v25 op_sel:[0,0,1] op_sel_hi:[0,1,0]
	v_fmac_f16_e64 v134, 0xb93d, v21
	v_alignbit_b32 v115, v118, v20, 16
	v_alignbit_b32 v118, s0, v14, 16
	v_pk_add_f16 v13, v14, v13
	v_pk_add_f16 v22, v23, v22
	v_pk_fma_f16 v23, 0x3b47, v18, v24 op_sel:[0,0,1] op_sel_hi:[0,1,0] neg_lo:[0,1,0] neg_hi:[0,1,0]
	v_pk_fma_f16 v18, 0x3b47, v18, v24 op_sel:[0,0,1] op_sel_hi:[0,1,0]
	v_pk_mul_f16 v21, 0xb08e, v21 op_sel_hi:[0,1]
	v_pk_add_f16 v25, v118, v123
	v_alignbit_b32 v14, s0, v119, 16
	v_pk_add_f16 v13, v119, v13
	v_pk_add_f16 v18, v18, v22
	v_pk_fma_f16 v22, 0xbbeb, v19, v21 op_sel:[0,0,1] op_sel_hi:[0,1,0]
	v_alignbit_b32 v24, s0, v23, 16
	v_pk_add_f16 v14, v14, v25
	v_pk_add_f16 v23, v23, v13
	v_pk_mul_f16 v13, 0x3853b482, v19
	v_pk_add_f16 v18, v22, v18
	v_mul_f16_e32 v22, 0xba0c, v19
	v_lshlrev_b32_e32 v112, 16, v112
	v_pack_b32_f16 v20, v113, v20
	v_mul_f16_e32 v113, 0x3b47, v15
	v_pk_fma_f16 v19, 0xbbeb, v19, v21 op_sel:[0,0,1] op_sel_hi:[0,1,0] neg_lo:[0,1,0] neg_hi:[0,1,0]
	v_pk_add_f16 v24, v24, v14
	v_pack_b32_f16 v14, v130, v127
	v_bfi_b32 v13, 0xffff, v126, v13
	v_pk_add_f16 v15, v137, v22 neg_lo:[0,1] neg_hi:[0,1]
	v_pk_add_f16 v21, v136, v112
	v_fma_f16 v22, v106, 0x36a6, -v113
	v_mul_lo_u16 v118, v60, 11
	v_pk_add_f16 v23, v19, v23
	v_alignbit_b32 v19, s0, v19, 16
	v_add_f16_e64 v117, v138, v117
	v_pk_add_f16 v112, v14, v13
	v_bfi_b32 v21, 0xffff, v15, v21
	v_fmac_f16_e32 v113, 0x36a6, v106
	v_add_f16_e32 v15, v22, v78
	v_and_b32_e32 v22, 0xffff, v118
	v_add_co_u32 v13, null, v60, 11
	v_add_f16_e64 v122, v131, v122
	v_add_f16_e64 v124, v132, v124
	v_pk_add_f16 v19, v19, v24
	v_add_f16_e64 v117, v134, v117
	v_pk_add_f16 v21, v21, v112
	v_add_f16_e32 v14, v113, v87
	v_lshl_add_u32 v87, v22, 2, v69
	v_pack_b32_f16 v22, v111, v128
	v_mul_u32_u24_e32 v78, 11, v13
	v_pack_b32_f16 v25, v122, v124
	v_pack_b32_f16 v24, v120, v129
	v_alignbit_b32 v23, v23, v18, 16
	v_pack_b32_f16 v18, v19, v18
	v_alignbit_b32 v19, v125, v21, 16
	v_pack_b32_f16 v21, v117, v21
	global_wb scope:SCOPE_SE
	s_wait_kmcnt 0x0
	s_barrier_signal -1
	s_barrier_wait -1
	global_inv scope:SCOPE_SE
	ds_store_2addr_b32 v87, v110, v22 offset1:7
	v_pack_b32_f16 v22, v116, v114
	ds_store_2addr_b32 v87, v20, v115 offset0:1 offset1:2
	ds_store_2addr_b32 v87, v24, v25 offset0:3 offset1:4
	;; [unrolled: 1-line block ×4, first 2 shown]
	ds_store_b32 v87, v22 offset:40
	s_and_saveexec_b32 s0, vcc_lo
	s_cbranch_execz .LBB0_7
; %bb.6:
	v_mul_f16_e32 v22, 0xb08e, v80
	v_pk_add_f16 v1, v1, v0
	v_mul_f16_e32 v18, 0x3abb, v34
	v_mul_f16_e32 v19, 0x36a6, v34
	;; [unrolled: 1-line block ×8, first 2 shown]
	v_add_f16_e32 v22, v39, v22
	v_pk_mul_f16 v34, 0x3abbbbad, v34
	v_pk_add_f16 v1, v16, v1
	v_alignbit_b32 v101, v101, v101, 16
	v_add_f16_e32 v79, v79, v82
	v_add_f16_e32 v22, v22, v91
	v_bfi_b32 v16, 0xffff, v27, v34
	v_pk_add_f16 v1, v17, v1
	v_mul_f16_e32 v111, 0xbbad, v86
	v_mul_f16_e32 v86, 0x36a6, v86
	v_sub_f16_e32 v21, v21, v38
	v_add_f16_e32 v22, v79, v22
	v_alignbit_b32 v79, v100, v100, 16
	v_pk_add_f16 v16, v18, v16 neg_lo:[0,1] neg_hi:[0,1]
	v_pk_add_f16 v17, v101, v34
	v_bfi_b32 v18, 0xffff, v28, v99
	v_pk_add_f16 v1, v6, v1
	v_mul_f16_e32 v25, 0xb93d, v83
	v_add_f16_e32 v20, v35, v20
	v_sub_f16_e32 v19, v19, v30
	v_mul_f16_e32 v83, 0xb08e, v85
	v_mul_f16_e32 v110, 0xbbad, v85
	;; [unrolled: 1-line block ×3, first 2 shown]
	v_add_f16_e32 v38, v84, v86
	v_alignbit_b32 v84, v104, v104, 16
	v_add_f16_e32 v21, v21, v0
	v_sub_f16_e32 v40, v80, v40
	v_bfi_b32 v6, 0xffff, v31, v98
	v_bfi_b32 v16, 0xffff, v16, v17
	v_pk_add_f16 v17, v23, v18 neg_lo:[0,1] neg_hi:[0,1]
	v_pk_add_f16 v18, v79, v99
	v_pk_add_f16 v1, v7, v1
	v_mul_f16_e32 v114, 0xb08e, v97
	v_mul_f16_e32 v97, 0x3abb, v97
	v_add_f16_e32 v20, v20, v91
	v_add_f16_e32 v25, v37, v25
	;; [unrolled: 1-line block ×3, first 2 shown]
	v_sub_f16_e32 v24, v24, v29
	v_mul_f16_e32 v112, 0xb93d, v92
	v_alignbit_b32 v35, v107, v107, 16
	v_add_f16_e32 v21, v40, v21
	v_sub_f16_e32 v40, v85, v81
	v_pk_add_f16 v6, v83, v6 neg_lo:[0,1] neg_hi:[0,1]
	v_pk_add_f16 v7, v84, v98
	v_bfi_b32 v23, 0xffff, v36, v96
	v_bfi_b32 v17, 0xffff, v17, v18
	v_pk_add_f16 v1, v4, v1
	v_pk_add_f16 v0, v16, v0
	v_mul_f16_e32 v113, 0xb08e, v92
	v_mul_f16_e32 v92, 0x3abb, v92
	;; [unrolled: 1-line block ×3, first 2 shown]
	v_add_f16_e32 v22, v38, v22
	v_add_f16_e32 v38, v95, v97
	;; [unrolled: 1-line block ×5, first 2 shown]
	v_sub_f16_e32 v24, v110, v33
	v_mul_f16_e32 v39, 0xbbad, v106
	v_add_f16_e32 v21, v40, v21
	v_alignbit_b32 v40, v109, v109, 16
	v_bfi_b32 v4, 0xffff, v6, v7
	v_pk_add_f16 v6, v112, v23 neg_lo:[0,1] neg_hi:[0,1]
	v_pk_add_f16 v7, v35, v96
	v_pk_add_f16 v1, v5, v1
	;; [unrolled: 1-line block ×3, first 2 shown]
	v_bfi_b32 v5, 0xffff, v88, v102
	v_mul_f16_e32 v115, 0x3abb, v106
	v_mul_f16_e32 v116, 0x3abb, v108
	v_mul_f16_e32 v106, 0xb93d, v106
	v_add_f16_e32 v22, v38, v22
	v_add_f16_e32 v37, v105, v82
	v_sub_f16_e32 v38, v92, v93
	v_add_f16_e32 v20, v25, v20
	v_add_f16_e32 v25, v90, v114
	;; [unrolled: 1-line block ×3, first 2 shown]
	v_sub_f16_e32 v16, v113, v68
	v_bfi_b32 v6, 0xffff, v6, v7
	v_pk_add_f16 v1, v2, v1
	v_pk_add_f16 v0, v4, v0
	v_pk_add_f16 v2, v39, v5 neg_lo:[0,1] neg_hi:[0,1]
	v_pk_add_f16 v4, v40, v102
	v_add_f16_e32 v22, v37, v22
	v_add_f16_e32 v21, v38, v21
	v_sub_f16_e32 v37, v106, v103
	v_add_f16_e32 v20, v25, v20
	v_add_f16_e32 v25, v94, v116
	;; [unrolled: 1-line block ×3, first 2 shown]
	v_sub_f16_e32 v7, v115, v89
	v_pk_add_f16 v1, v3, v1
	v_pk_add_f16 v0, v6, v0
	v_bfi_b32 v2, 0xffff, v2, v4
	v_add_f16_e32 v21, v37, v21
	v_add_f16_e32 v3, v25, v20
	v_add_f16_e32 v4, v7, v5
	v_lshl_add_u32 v5, v78, 2, v69
	v_pk_add_f16 v1, v26, v1
	v_pk_add_f16 v0, v2, v0
	v_pack_b32_f16 v2, v21, v22
	v_pack_b32_f16 v3, v4, v3
	v_perm_b32 v4, v74, v15, 0x5040100
	v_perm_b32 v6, v75, v77, 0x5040100
	v_alignbit_b32 v7, v76, v75, 16
	v_perm_b32 v16, v72, v11, 0x5040100
	v_perm_b32 v17, v73, v14, 0x5040100
	v_bfi_b32 v18, 0xffff, v70, v77
	v_perm_b32 v19, v71, v12, 0x5040100
	ds_store_2addr_b32 v5, v1, v0 offset1:1
	ds_store_2addr_b32 v5, v3, v2 offset0:2 offset1:3
	ds_store_b32 v5, v4 offset:16
	ds_store_2addr_b32 v5, v6, v7 offset0:5 offset1:6
	ds_store_2addr_b32 v5, v17, v16 offset0:7 offset1:8
	;; [unrolled: 1-line block ×3, first 2 shown]
.LBB0_7:
	s_wait_alu 0xfffe
	s_or_b32 exec_lo, exec_lo, s0
	v_add_co_u32 v34, null, v60, 22
	v_lshlrev_b32_e32 v33, 4, v60
	global_wb scope:SCOPE_SE
	s_wait_dscnt 0x0
	s_barrier_signal -1
	v_and_b32_e32 v4, 0xff, v34
	s_barrier_wait -1
	global_inv scope:SCOPE_SE
	global_load_b128 v[0:3], v33, s[2:3]
	v_lshlrev_b32_e32 v26, 3, v60
	v_mul_lo_u16 v4, 0x75, v4
	v_lshlrev_b32_e32 v37, 3, v34
	v_lshlrev_b32_e32 v13, 3, v13
	s_delay_alu instid0(VALU_DEP_3) | instskip(NEXT) | instid1(VALU_DEP_1)
	v_lshrrev_b16 v4, 8, v4
	v_sub_nc_u16 v5, v34, v4
	s_delay_alu instid0(VALU_DEP_1) | instskip(NEXT) | instid1(VALU_DEP_1)
	v_lshrrev_b16 v5, 1, v5
	v_and_b32_e32 v5, 0x7f, v5
	s_delay_alu instid0(VALU_DEP_1) | instskip(NEXT) | instid1(VALU_DEP_1)
	v_add_nc_u16 v4, v5, v4
	v_lshrrev_b16 v4, 3, v4
	s_delay_alu instid0(VALU_DEP_1) | instskip(NEXT) | instid1(VALU_DEP_1)
	v_mul_lo_u16 v4, v4, 11
	v_sub_nc_u16 v35, v34, v4
	s_delay_alu instid0(VALU_DEP_1) | instskip(SKIP_1) | instid1(VALU_DEP_2)
	v_lshlrev_b16 v4, 2, v35
	v_and_b32_e32 v35, 0xff, v35
	v_and_b32_e32 v4, 0xfc, v4
	s_delay_alu instid0(VALU_DEP_2) | instskip(NEXT) | instid1(VALU_DEP_2)
	v_lshl_add_u32 v79, v35, 2, v69
	v_lshlrev_b32_e32 v4, 2, v4
	global_load_b128 v[4:7], v4, s[2:3]
	ds_load_2addr_b32 v[24:25], v42 offset1:11
	ds_load_2addr_b32 v[16:17], v42 offset0:22 offset1:33
	ds_load_2addr_b32 v[28:29], v42 offset0:66 offset1:77
	;; [unrolled: 1-line block ×6, first 2 shown]
	ds_load_b32 v27, v42 offset:616
	v_add_co_u32 v33, s0, s2, v33
	s_wait_alu 0xf1ff
	v_add_co_ci_u32_e64 v36, null, s3, 0, s0
	global_wb scope:SCOPE_SE
	s_wait_loadcnt_dscnt 0x0
	v_sub_co_u32 v33, s0, v33, v26
	s_wait_alu 0xf1ff
	v_subrev_co_ci_u32_e64 v34, s0, 0, v36, s0
	s_barrier_signal -1
	s_barrier_wait -1
	global_inv scope:SCOPE_SE
	s_add_nc_u64 s[0:1], s[12:13], 0x294
	v_lshrrev_b32_e32 v36, 16, v24
	v_lshrrev_b32_e32 v38, 16, v17
	;; [unrolled: 1-line block ×19, first 2 shown]
	s_delay_alu instid0(VALU_DEP_4)
	v_mul_f16_e32 v35, v38, v94
	v_mul_f16_e32 v90, v17, v94
	v_mul_f16_e32 v95, v39, v93
	v_mul_f16_e32 v96, v28, v93
	v_mul_f16_e32 v97, v40, v92
	v_mul_f16_e32 v98, v19, v92
	v_mul_f16_e32 v99, v41, v91
	v_mul_f16_e32 v100, v30, v91
	v_mul_f16_e32 v101, v80, v94
	v_mul_f16_e32 v102, v22, v94
	v_mul_f16_e32 v103, v81, v93
	v_mul_f16_e32 v104, v29, v93
	v_mul_f16_e32 v105, v82, v92
	v_mul_f16_e32 v107, v83, v91
	v_fma_f16 v17, v17, v0, -v35
	v_fmac_f16_e32 v90, v38, v0
	v_fma_f16 v28, v28, v1, -v95
	v_fmac_f16_e32 v96, v39, v1
	;; [unrolled: 2-line block ×4, first 2 shown]
	v_mul_f16_e32 v106, v20, v92
	v_mul_f16_e32 v108, v31, v91
	v_fma_f16 v22, v22, v0, -v101
	v_fmac_f16_e32 v102, v80, v0
	v_fma_f16 v29, v29, v1, -v103
	v_fmac_f16_e32 v104, v81, v1
	v_fma_f16 v20, v20, v2, -v105
	v_fma_f16 v31, v31, v3, -v107
	v_add_f16_e32 v35, v24, v17
	v_add_f16_e32 v38, v28, v19
	v_sub_f16_e32 v41, v17, v28
	v_sub_f16_e32 v80, v30, v19
	v_add_f16_e32 v81, v17, v30
	v_add_f16_e32 v95, v36, v90
	;; [unrolled: 1-line block ×4, first 2 shown]
	v_fmac_f16_e32 v106, v82, v2
	v_fmac_f16_e32 v108, v83, v3
	v_sub_f16_e32 v39, v90, v100
	v_sub_f16_e32 v82, v28, v17
	;; [unrolled: 1-line block ×8, first 2 shown]
	v_add_f16_e32 v109, v25, v22
	v_add_f16_e32 v110, v29, v20
	;; [unrolled: 1-line block ×5, first 2 shown]
	v_fma_f16 v35, -0.5, v38, v24
	v_add_f16_e32 v38, v41, v80
	v_fma_f16 v24, -0.5, v81, v24
	v_add_f16_e32 v80, v95, v96
	v_fma_f16 v81, -0.5, v97, v36
	v_sub_f16_e32 v40, v96, v98
	v_fmac_f16_e32 v36, -0.5, v105
	v_sub_f16_e32 v103, v100, v98
	v_sub_f16_e32 v111, v102, v108
	v_sub_f16_e32 v112, v104, v106
	v_sub_f16_e32 v113, v22, v29
	v_sub_f16_e32 v116, v29, v22
	v_sub_f16_e32 v120, v29, v20
	v_add_f16_e32 v41, v82, v83
	v_add_f16_e32 v83, v90, v107
	;; [unrolled: 1-line block ×3, first 2 shown]
	v_fma_f16 v90, -0.5, v110, v25
	v_fmac_f16_e32 v25, -0.5, v115
	v_add_f16_e32 v97, v118, v104
	v_add_f16_e32 v19, v28, v19
	v_fmamk_f16 v28, v39, 0x3b9c, v35
	v_fmac_f16_e32 v35, 0xbb9c, v39
	v_add_f16_e32 v80, v80, v98
	v_fmamk_f16 v98, v17, 0xbb9c, v81
	v_fmac_f16_e32 v81, 0x3b9c, v17
	v_add_f16_e32 v119, v104, v106
	v_sub_f16_e32 v121, v102, v104
	v_add_f16_e32 v123, v102, v108
	v_sub_f16_e32 v102, v104, v102
	v_fmamk_f16 v104, v40, 0xbb9c, v24
	v_fmac_f16_e32 v24, 0x3b9c, v40
	v_fmamk_f16 v105, v99, 0x3b9c, v36
	v_fmac_f16_e32 v36, 0xbb9c, v99
	v_sub_f16_e32 v114, v31, v20
	v_sub_f16_e32 v117, v20, v31
	v_add_f16_e32 v82, v101, v103
	v_add_f16_e32 v20, v29, v20
	v_fmamk_f16 v29, v111, 0x3b9c, v90
	v_fmac_f16_e32 v90, 0xbb9c, v111
	v_fmamk_f16 v107, v112, 0xbb9c, v25
	v_fmac_f16_e32 v25, 0x3b9c, v112
	v_add_f16_e32 v97, v97, v106
	v_fmac_f16_e32 v28, 0x38b4, v40
	v_fmac_f16_e32 v35, 0xb8b4, v40
	;; [unrolled: 1-line block ×4, first 2 shown]
	v_fma_f16 v101, -0.5, v119, v68
	v_fmac_f16_e32 v68, -0.5, v123
	v_fmac_f16_e32 v104, 0x38b4, v39
	v_fmac_f16_e32 v24, 0xb8b4, v39
	;; [unrolled: 1-line block ×4, first 2 shown]
	v_add_f16_e32 v95, v113, v114
	v_add_f16_e32 v96, v116, v117
	;; [unrolled: 1-line block ×5, first 2 shown]
	v_fmac_f16_e32 v29, 0x38b4, v112
	v_fmac_f16_e32 v90, 0xb8b4, v112
	;; [unrolled: 1-line block ×4, first 2 shown]
	v_add_f16_e32 v20, v97, v108
	v_fmac_f16_e32 v28, 0x34f2, v38
	v_fmac_f16_e32 v35, 0x34f2, v38
	;; [unrolled: 1-line block ×4, first 2 shown]
	v_sub_f16_e32 v22, v22, v31
	v_fmamk_f16 v109, v120, 0x3b9c, v68
	v_fmac_f16_e32 v68, 0xbb9c, v120
	v_fmac_f16_e32 v104, 0x34f2, v41
	;; [unrolled: 1-line block ×9, first 2 shown]
	v_pack_b32_f16 v19, v19, v30
	v_pack_b32_f16 v17, v17, v20
	;; [unrolled: 1-line block ×4, first 2 shown]
	v_lshrrev_b32_e32 v98, 16, v4
	v_lshrrev_b32_e32 v97, 16, v5
	;; [unrolled: 1-line block ×4, first 2 shown]
	v_sub_f16_e32 v122, v108, v106
	v_sub_f16_e32 v124, v106, v108
	v_fmamk_f16 v106, v22, 0xbb9c, v101
	v_fmac_f16_e32 v101, 0x3b9c, v22
	v_fmac_f16_e32 v109, 0xb8b4, v22
	;; [unrolled: 1-line block ×3, first 2 shown]
	v_pack_b32_f16 v22, v104, v105
	v_pack_b32_f16 v24, v24, v36
	ds_store_2addr_b32 v42, v19, v20 offset1:11
	ds_store_2addr_b32 v42, v22, v24 offset0:22 offset1:33
	ds_store_2addr_b32 v42, v28, v17 offset0:44 offset1:55
	v_mul_f16_e32 v17, v85, v98
	v_mul_f16_e32 v19, v23, v98
	;; [unrolled: 1-line block ×8, first 2 shown]
	v_fma_f16 v17, v23, v4, -v17
	v_fmac_f16_e32 v19, v85, v4
	v_fma_f16 v18, v18, v5, -v20
	v_fmac_f16_e32 v22, v86, v5
	;; [unrolled: 2-line block ×3, first 2 shown]
	v_fma_f16 v21, v27, v7, -v35
	v_add_f16_e32 v102, v102, v124
	v_fmac_f16_e32 v36, v89, v7
	v_add_f16_e32 v23, v16, v17
	v_add_f16_e32 v24, v18, v20
	v_sub_f16_e32 v38, v17, v18
	v_sub_f16_e32 v39, v21, v20
	v_add_f16_e32 v80, v84, v19
	v_add_f16_e32 v81, v22, v28
	v_fmac_f16_e32 v68, 0x34f2, v102
	v_add_f16_e32 v40, v17, v21
	v_add_f16_e32 v86, v19, v36
	v_sub_f16_e32 v27, v19, v36
	v_sub_f16_e32 v35, v22, v28
	;; [unrolled: 1-line block ×7, first 2 shown]
	v_add_f16_e32 v18, v23, v18
	v_fma_f16 v23, -0.5, v24, v16
	v_add_f16_e32 v24, v38, v39
	v_add_f16_e32 v22, v80, v22
	v_fma_f16 v39, -0.5, v81, v84
	v_pack_b32_f16 v25, v25, v68
	v_sub_f16_e32 v68, v20, v21
	v_fmac_f16_e32 v16, -0.5, v40
	v_fmac_f16_e32 v84, -0.5, v86
	v_sub_f16_e32 v85, v36, v28
	v_sub_f16_e32 v88, v28, v36
	v_add_f16_e32 v18, v18, v20
	v_fmamk_f16 v20, v27, 0x3b9c, v23
	v_add_f16_e32 v22, v22, v28
	v_fmamk_f16 v28, v17, 0xbb9c, v39
	v_add_f16_e32 v38, v41, v68
	v_fmamk_f16 v41, v35, 0xbb9c, v16
	v_fmac_f16_e32 v16, 0x3b9c, v35
	v_fmamk_f16 v68, v82, 0x3b9c, v84
	v_fmac_f16_e32 v84, 0xbb9c, v82
	v_fmac_f16_e32 v23, 0xbb9c, v27
	;; [unrolled: 1-line block ×3, first 2 shown]
	v_add_f16_e32 v103, v121, v122
	v_fmac_f16_e32 v106, 0xb8b4, v120
	v_fmac_f16_e32 v101, 0x38b4, v120
	v_add_f16_e32 v40, v83, v85
	v_fmac_f16_e32 v20, 0x38b4, v35
	v_fmac_f16_e32 v28, 0xb8b4, v82
	;; [unrolled: 3-line block ×3, first 2 shown]
	v_fmac_f16_e32 v68, 0xb8b4, v17
	v_fmac_f16_e32 v84, 0x38b4, v17
	;; [unrolled: 1-line block ×7, first 2 shown]
	v_add_f16_e32 v18, v18, v21
	v_add_f16_e32 v21, v22, v36
	v_fmac_f16_e32 v20, 0x34f2, v24
	v_fmac_f16_e32 v28, 0x34f2, v40
	;; [unrolled: 1-line block ×8, first 2 shown]
	v_pack_b32_f16 v29, v29, v106
	v_pack_b32_f16 v30, v107, v109
	v_pack_b32_f16 v31, v90, v101
	v_pack_b32_f16 v17, v18, v21
	v_pack_b32_f16 v18, v20, v28
	v_pack_b32_f16 v19, v41, v68
	v_pack_b32_f16 v16, v16, v84
	v_pack_b32_f16 v20, v23, v39
	ds_store_2addr_b32 v42, v29, v30 offset0:66 offset1:77
	ds_store_2addr_b32 v42, v25, v31 offset0:88 offset1:99
	;; [unrolled: 1-line block ×4, first 2 shown]
	ds_store_b32 v79, v20 offset:616
	v_add_nc_u32_e32 v16, 0x108, v26
	global_wb scope:SCOPE_SE
	s_wait_dscnt 0x0
	s_barrier_signal -1
	s_barrier_wait -1
	global_inv scope:SCOPE_SE
	s_clause 0x1
	global_load_b64 v[21:22], v[33:34], off offset:176
	global_load_b64 v[23:24], v13, s[2:3] offset:176
	v_add_nc_u32_e32 v13, 0x160, v26
	s_clause 0x2
	global_load_b64 v[25:26], v37, s[2:3] offset:176
	global_load_b64 v[19:20], v16, s[2:3] offset:176
	;; [unrolled: 1-line block ×3, first 2 shown]
	ds_load_2addr_b32 v[33:34], v42 offset1:11
	ds_load_2addr_b32 v[29:30], v42 offset0:44 offset1:55
	ds_load_2addr_b32 v[35:36], v42 offset0:110 offset1:121
	;; [unrolled: 1-line block ×6, first 2 shown]
	ds_load_b32 v13, v42 offset:616
	v_lshl_add_u32 v68, v60, 2, v69
	s_wait_dscnt 0x7
	v_lshrrev_b32_e32 v16, 16, v33
	s_wait_dscnt 0x6
	v_lshrrev_b32_e32 v31, 16, v30
	;; [unrolled: 2-line block ×4, first 2 shown]
	v_lshrrev_b32_e32 v105, 16, v36
	v_lshrrev_b32_e32 v107, 16, v38
	s_wait_dscnt 0x2
	v_lshrrev_b32_e32 v108, 16, v39
	s_wait_dscnt 0x1
	;; [unrolled: 2-line block ×3, first 2 shown]
	v_lshrrev_b32_e32 v112, 16, v13
	v_lshrrev_b32_e32 v109, 16, v102
	;; [unrolled: 1-line block ×7, first 2 shown]
	s_wait_loadcnt 0x4
	v_lshrrev_b32_e32 v90, 16, v21
	v_lshrrev_b32_e32 v89, 16, v22
	s_wait_loadcnt 0x3
	v_lshrrev_b32_e32 v88, 16, v23
	v_lshrrev_b32_e32 v86, 16, v24
	;; [unrolled: 3-line block ×4, first 2 shown]
	v_lshrrev_b32_e32 v83, 16, v19
	v_lshrrev_b32_e32 v82, 16, v20
	v_mul_f16_e32 v113, v31, v90
	v_mul_f16_e32 v114, v30, v90
	;; [unrolled: 1-line block ×12, first 2 shown]
	v_mul_f16_e64 v129, v111, v81
	v_mul_f16_e64 v130, v103, v81
	;; [unrolled: 1-line block ×4, first 2 shown]
	v_mul_f16_e32 v125, v109, v83
	v_mul_f16_e32 v126, v102, v83
	;; [unrolled: 1-line block ×3, first 2 shown]
	v_mul_f16_e64 v128, v40, v82
	v_fma_f16 v30, v30, v21, -v113
	v_fmac_f16_e32 v114, v31, v21
	v_fma_f16 v31, v35, v22, -v115
	v_fmac_f16_e32 v116, v41, v22
	;; [unrolled: 2-line block ×6, first 2 shown]
	v_fma_f16 v41, v103, v17, -v129
	v_fmac_f16_e64 v130, v111, v17
	v_fma_f16 v13, v13, v18, -v131
	v_fmac_f16_e64 v132, v112, v18
	v_fma_f16 v39, v102, v19, -v125
	v_fmac_f16_e32 v126, v109, v19
	v_fma_f16 v40, v40, v20, -v127
	v_fmac_f16_e64 v128, v110, v20
	v_add_f16_e32 v103, v30, v31
	v_add_f16_e32 v107, v114, v116
	;; [unrolled: 1-line block ×4, first 2 shown]
	v_sub_f16_e32 v104, v114, v116
	v_add_f16_e32 v105, v16, v114
	v_add_f16_e32 v108, v34, v35
	v_sub_f16_e32 v110, v118, v120
	v_add_f16_e32 v111, v99, v118
	v_add_f16_e32 v114, v37, v38
	;; [unrolled: 1-line block ×4, first 2 shown]
	v_sub_f16_e64 v129, v130, v132
	v_add_f16_e64 v131, v101, v130
	v_add_f16_e64 v130, v130, v132
	v_add_f16_e32 v102, v33, v30
	v_add_f16_e32 v113, v27, v37
	v_add_f16_e32 v117, v106, v122
	v_add_f16_e32 v121, v39, v40
	v_add_f16_e64 v125, v126, v128
	v_sub_f16_e32 v30, v30, v31
	v_sub_f16_e32 v35, v35, v36
	;; [unrolled: 1-line block ×3, first 2 shown]
	v_sub_f16_e64 v122, v126, v128
	v_add_f16_e32 v123, v100, v126
	v_add_f16_e32 v126, v29, v41
	v_fma_f16 v33, -0.5, v103, v33
	v_fmac_f16_e32 v16, -0.5, v107
	v_fmac_f16_e32 v34, -0.5, v109
	;; [unrolled: 1-line block ×3, first 2 shown]
	v_sub_f16_e32 v37, v37, v38
	v_add_f16_e32 v36, v108, v36
	v_fma_f16 v108, -0.5, v114, v27
	v_fmac_f16_e32 v106, -0.5, v118
	v_sub_f16_e32 v41, v41, v13
	v_fmac_f16_e32 v29, -0.5, v127
	v_fmac_f16_e64 v101, -0.5, v130
	v_add_f16_e32 v119, v28, v39
	v_sub_f16_e32 v39, v39, v40
	v_add_f16_e64 v133, v102, v31
	v_add_f16_e32 v105, v105, v116
	v_add_f16_e32 v107, v111, v120
	;; [unrolled: 1-line block ×4, first 2 shown]
	v_fmac_f16_e32 v28, -0.5, v121
	v_fmac_f16_e32 v100, -0.5, v125
	v_add_f16_e32 v31, v126, v13
	v_fmamk_f16 v13, v104, 0x3aee, v33
	v_fmac_f16_e32 v33, 0xbaee, v104
	v_fmamk_f16 v104, v30, 0xbaee, v16
	v_fmac_f16_e32 v16, 0x3aee, v30
	;; [unrolled: 2-line block ×4, first 2 shown]
	v_fmamk_f16 v35, v115, 0x3aee, v108
	v_fmamk_f16 v112, v37, 0xbaee, v106
	v_add_f16_e64 v102, v131, v132
	v_fmac_f16_e32 v108, 0xbaee, v115
	v_fmac_f16_e32 v106, 0x3aee, v37
	v_fma_f16 v27, 0x3aee, v129, v29
	v_fmac_f16_e64 v29, 0xbaee, v129
	v_fmamk_f16 v103, v41, 0xbaee, v101
	v_fmac_f16_e32 v101, 0x3aee, v41
	v_add_f16_e32 v40, v119, v40
	v_add_f16_e64 v111, v123, v128
	v_fmamk_f16 v37, v122, 0x3aee, v28
	v_fmac_f16_e32 v28, 0xbaee, v122
	v_fmamk_f16 v113, v39, 0xbaee, v100
	v_fmac_f16_e32 v100, 0x3aee, v39
	v_pack_b32_f16 v39, v133, v105
	v_pack_b32_f16 v36, v36, v107
	;; [unrolled: 1-line block ×12, first 2 shown]
	ds_store_2addr_b32 v68, v36, v38 offset0:11 offset1:22
	v_pack_b32_f16 v36, v37, v113
	v_pack_b32_f16 v37, v28, v100
	;; [unrolled: 1-line block ×3, first 2 shown]
	ds_store_b32 v42, v39
	ds_store_2addr_b32 v68, v13, v30 offset0:55 offset1:66
	ds_store_2addr_b32 v68, v16, v33 offset0:110 offset1:121
	ds_store_b32 v42, v34 offset:308
	ds_store_b32 v42, v35 offset:528
	;; [unrolled: 1-line block ×8, first 2 shown]
	global_wb scope:SCOPE_SE
	s_wait_dscnt 0x0
	s_barrier_signal -1
	s_barrier_wait -1
	global_inv scope:SCOPE_SE
	s_clause 0xa
	global_load_b32 v13, v[8:9], off offset:660
	global_load_b32 v16, v32, s[0:1] offset:60
	global_load_b32 v30, v32, s[0:1] offset:120
	;; [unrolled: 1-line block ×10, first 2 shown]
	ds_load_2addr_b32 v[33:34], v42 offset1:15
	ds_load_2addr_b32 v[35:36], v42 offset0:30 offset1:45
	ds_load_2addr_b32 v[37:38], v42 offset0:60 offset1:75
	;; [unrolled: 1-line block ×4, first 2 shown]
	ds_load_b32 v112, v42 offset:600
	s_wait_dscnt 0x5
	v_lshrrev_b32_e32 v113, 16, v33
	v_lshrrev_b32_e32 v114, 16, v34
	s_wait_dscnt 0x4
	v_lshrrev_b32_e32 v115, 16, v35
	v_lshrrev_b32_e32 v116, 16, v36
	;; [unrolled: 3-line block ×5, first 2 shown]
	s_wait_dscnt 0x0
	v_lshrrev_b32_e32 v123, 16, v112
	s_wait_loadcnt 0xa
	v_lshrrev_b32_e32 v124, 16, v13
	s_wait_loadcnt 0x9
	;; [unrolled: 2-line block ×11, first 2 shown]
	v_lshrrev_b32_e32 v134, 16, v111
	v_mul_f16_e64 v135, v113, v124
	v_mul_f16_e32 v124, v33, v124
	v_mul_f16_e64 v136, v114, v125
	v_mul_f16_e32 v125, v34, v125
	;; [unrolled: 2-line block ×4, first 2 shown]
	v_mul_f16_e64 v139, v117, v128
	v_mul_f16_e64 v128, v37, v128
	;; [unrolled: 1-line block ×14, first 2 shown]
	v_fma_f16 v33, v33, v13, -v135
	v_fmac_f16_e32 v124, v113, v13
	v_fma_f16 v13, v34, v16, -v136
	v_fmac_f16_e32 v125, v114, v16
	;; [unrolled: 2-line block ×4, first 2 shown]
	v_fma_f16 v34, v37, v99, -v139
	v_fmac_f16_e64 v128, v117, v99
	v_fma_f16 v35, v38, v106, -v140
	v_fmac_f16_e64 v129, v118, v106
	v_fma_f16 v36, v39, v107, -v141
	v_fmac_f16_e64 v130, v119, v107
	v_fma_f16 v37, v40, v108, -v142
	v_fmac_f16_e64 v131, v120, v108
	v_fma_f16 v38, v104, v109, -v143
	v_fmac_f16_e64 v132, v121, v109
	v_fma_f16 v39, v105, v110, -v144
	v_fmac_f16_e64 v133, v122, v110
	v_fma_f16 v40, v112, v111, -v145
	v_fmac_f16_e64 v134, v123, v111
	v_pack_b32_f16 v33, v33, v124
	v_pack_b32_f16 v13, v13, v125
	;; [unrolled: 1-line block ×11, first 2 shown]
	ds_store_2addr_b32 v42, v33, v13 offset1:15
	ds_store_2addr_b32 v42, v16, v30 offset0:30 offset1:45
	ds_store_2addr_b32 v42, v34, v35 offset0:60 offset1:75
	ds_store_2addr_b32 v42, v36, v37 offset0:90 offset1:105
	ds_store_2addr_b32 v42, v38, v39 offset0:120 offset1:135
	ds_store_b32 v42, v40 offset:600
	s_and_saveexec_b32 s2, vcc_lo
	s_cbranch_execz .LBB0_9
; %bb.8:
	s_wait_alu 0xfffe
	v_add_co_u32 v32, s0, s0, v32
	s_wait_alu 0xf1ff
	v_add_co_ci_u32_e64 v33, null, s1, 0, s0
	s_clause 0xa
	global_load_b32 v13, v[32:33], off offset:44
	global_load_b32 v16, v[32:33], off offset:104
	;; [unrolled: 1-line block ×11, first 2 shown]
	ds_load_2addr_b32 v[32:33], v68 offset0:11 offset1:26
	ds_load_2addr_b32 v[34:35], v68 offset0:41 offset1:56
	;; [unrolled: 1-line block ×5, first 2 shown]
	ds_load_b32 v111, v68 offset:644
	s_wait_dscnt 0x5
	v_lshrrev_b32_e32 v112, 16, v32
	v_lshrrev_b32_e32 v113, 16, v33
	s_wait_dscnt 0x4
	v_lshrrev_b32_e32 v114, 16, v34
	v_lshrrev_b32_e32 v115, 16, v35
	;; [unrolled: 3-line block ×5, first 2 shown]
	s_wait_dscnt 0x0
	v_lshrrev_b32_e32 v122, 16, v111
	s_wait_loadcnt 0xa
	v_lshrrev_b32_e32 v123, 16, v13
	s_wait_loadcnt 0x9
	;; [unrolled: 2-line block ×11, first 2 shown]
	v_lshrrev_b32_e32 v133, 16, v110
	v_mul_f16_e64 v134, v112, v123
	v_mul_f16_e32 v123, v32, v123
	v_mul_f16_e64 v135, v113, v124
	v_mul_f16_e32 v124, v33, v124
	;; [unrolled: 2-line block ×5, first 2 shown]
	v_mul_f16_e64 v139, v117, v128
	v_mul_f16_e64 v128, v37, v128
	;; [unrolled: 1-line block ×12, first 2 shown]
	v_fma_f16 v32, v32, v13, -v134
	v_fmac_f16_e32 v123, v112, v13
	v_fma_f16 v13, v33, v16, -v135
	v_fmac_f16_e32 v124, v113, v16
	;; [unrolled: 2-line block ×5, first 2 shown]
	v_fma_f16 v34, v37, v105, -v139
	v_fmac_f16_e64 v128, v117, v105
	v_fma_f16 v35, v38, v106, -v140
	v_fmac_f16_e64 v129, v118, v106
	;; [unrolled: 2-line block ×6, first 2 shown]
	v_pack_b32_f16 v32, v32, v123
	v_pack_b32_f16 v13, v13, v124
	;; [unrolled: 1-line block ×11, first 2 shown]
	ds_store_2addr_b32 v68, v32, v13 offset0:11 offset1:26
	ds_store_2addr_b32 v68, v16, v30 offset0:41 offset1:56
	;; [unrolled: 1-line block ×5, first 2 shown]
	ds_store_b32 v68, v39 offset:644
.LBB0_9:
	s_wait_alu 0xfffe
	s_or_b32 exec_lo, exec_lo, s2
	global_wb scope:SCOPE_SE
	s_wait_dscnt 0x0
	s_barrier_signal -1
	s_barrier_wait -1
	global_inv scope:SCOPE_SE
	ds_load_2addr_b32 v[32:33], v42 offset1:15
	ds_load_2addr_b32 v[38:39], v42 offset0:30 offset1:45
	ds_load_2addr_b32 v[34:35], v42 offset0:60 offset1:75
	;; [unrolled: 1-line block ×4, first 2 shown]
	ds_load_b32 v104, v42 offset:600
	v_lshrrev_b32_e32 v13, 16, v75
	s_and_saveexec_b32 s0, vcc_lo
	s_cbranch_execz .LBB0_11
; %bb.10:
	ds_load_2addr_b32 v[30:31], v68 offset0:11 offset1:26
	ds_load_2addr_b32 v[27:28], v68 offset0:41 offset1:56
	;; [unrolled: 1-line block ×5, first 2 shown]
	ds_load_b32 v70, v68 offset:644
	s_wait_dscnt 0x5
	v_lshrrev_b32_e32 v100, 16, v30
	v_lshrrev_b32_e32 v102, 16, v31
	s_wait_dscnt 0x4
	v_lshrrev_b32_e32 v103, 16, v27
	v_lshrrev_b32_e32 v101, 16, v28
	;; [unrolled: 3-line block ×5, first 2 shown]
	s_wait_dscnt 0x0
	v_bfi_b32 v77, 0xffff, v16, v70
	v_dual_mov_b32 v29, v28 :: v_dual_mov_b32 v28, v30
.LBB0_11:
	s_wait_alu 0xfffe
	s_or_b32 exec_lo, exec_lo, s0
	s_wait_dscnt 0x5
	v_pk_add_f16 v105, v32, v33
	s_wait_dscnt 0x0
	v_pk_add_f16 v106, v33, v104 neg_lo:[0,1] neg_hi:[0,1]
	v_pk_add_f16 v33, v104, v33
	v_lshrrev_b32_e32 v108, 16, v32
	v_add_nc_u32_e32 v99, 0x58, v42
	v_pk_add_f16 v105, v105, v38
	v_lshrrev_b32_e32 v109, 16, v106
	v_pk_mul_f16 v107, 0xb853, v106 op_sel_hi:[0,1]
	v_lshrrev_b32_e32 v110, 16, v33
	v_add_nc_u32_e32 v30, 0x84, v42
	v_pk_add_f16 v105, v105, v39
	v_mul_f16_e32 v114, 0xbbeb, v109
	v_pk_fma_f16 v111, 0x3abb, v33, v107 op_sel:[0,0,1] op_sel_hi:[0,1,0]
	v_pk_fma_f16 v107, 0x3abb, v33, v107 op_sel:[0,0,1] op_sel_hi:[0,1,0] neg_lo:[0,0,1] neg_hi:[0,0,1]
	v_mul_f16_e32 v112, 0xbb47, v109
	v_pk_add_f16 v105, v105, v34
	v_fmamk_f16 v119, v33, 0xb08e, v114
	v_fma_f16 v114, v33, 0xb08e, -v114
	v_mul_f16_e32 v113, 0x36a6, v110
	v_mul_f16_e32 v115, 0xb08e, v110
	v_pk_add_f16 v105, v105, v35
	v_mul_f16_e32 v110, 0xb93d, v110
	v_bfi_b32 v116, 0xffff, v111, v107
	v_fmamk_f16 v117, v33, 0x36a6, v112
	v_fmamk_f16 v118, v106, 0x3b47, v113
	v_pk_add_f16 v105, v105, v36
	v_fma_f16 v112, v33, 0x36a6, -v112
	v_fmac_f16_e32 v113, 0xbb47, v106
	v_fmamk_f16 v120, v106, 0x3beb, v115
	v_pk_add_f16 v116, v32, v116
	v_pk_add_f16 v105, v105, v37
	v_add_f16_e32 v117, v32, v117
	v_fmac_f16_e32 v115, 0xbbeb, v106
	v_fmamk_f16 v122, v106, 0x3a0c, v110
	v_fmac_f16_e32 v110, 0xba0c, v106
	v_pk_add_f16 v105, v105, v40
	v_add_f16_e32 v118, v108, v118
	v_add_f16_e32 v112, v32, v112
	v_add_f16_e32 v113, v108, v113
	v_add_f16_e32 v120, v108, v120
	v_pk_add_f16 v105, v105, v41
	v_add_f16_e32 v115, v108, v115
	v_add_f16_e32 v122, v108, v122
	;; [unrolled: 1-line block ×3, first 2 shown]
	v_mul_f16_e32 v109, 0xba0c, v109
	v_pk_add_f16 v104, v105, v104
	v_add_f16_e32 v105, v32, v114
	v_pk_add_f16 v114, v38, v41 neg_lo:[0,1] neg_hi:[0,1]
	v_pk_add_f16 v38, v41, v38
	v_add_f16_e32 v119, v32, v119
	v_fmamk_f16 v121, v33, 0xb93d, v109
	v_fma_f16 v109, v33, 0xb93d, -v109
	v_pk_mul_f16 v41, 0xbb47, v114 op_sel_hi:[0,1]
	v_lshrrev_b32_e32 v123, 16, v114
	v_lshrrev_b32_e32 v126, 16, v38
	v_add_f16_e32 v121, v32, v121
	v_add_f16_e32 v109, v32, v109
	v_pk_fma_f16 v124, 0x36a6, v38, v41 op_sel:[0,0,1] op_sel_hi:[0,1,0]
	v_pk_fma_f16 v41, 0x36a6, v38, v41 op_sel:[0,0,1] op_sel_hi:[0,1,0] neg_lo:[0,0,1] neg_hi:[0,0,1]
	v_mul_f16_e32 v125, 0xba0c, v123
	v_mul_f16_e64 v129, 0xb93d, v126
	v_pk_mul_f16 v33, 0xbbad, v33 op_sel_hi:[0,1]
	v_bfi_b32 v107, 0xffff, v107, v111
	v_bfi_b32 v127, 0xffff, v124, v41
	v_fma_f16 v128, 0xb93d, v38, v125
	v_fma_f16 v125, v38, 0xb93d, -v125
	v_bfi_b32 v41, 0xffff, v41, v124
	v_add_nc_u32_e32 v16, 0xb0, v42
	v_pk_add_f16 v110, v127, v116
	v_add_f16_e64 v116, v128, v117
	v_fma_f16 v117, 0x3a0c, v114, v129
	v_mul_f16_e32 v127, 0x3482, v123
	v_mul_f16_e64 v128, 0xbbad, v126
	v_add_f16_e32 v112, v125, v112
	v_fmac_f16_e64 v129, 0xba0c, v114
	v_add_f16_e32 v117, v117, v118
	v_fmamk_f16 v118, v38, 0xbbad, v127
	v_fma_f16 v130, 0xb482, v114, v128
	v_fma_f16 v125, v38, 0xbbad, -v127
	v_add_f16_e64 v113, v129, v113
	v_fmac_f16_e64 v128, 0x3482, v114
	v_add_f16_e32 v118, v118, v119
	v_add_f16_e64 v119, v130, v120
	v_mul_f16_e32 v120, 0x3beb, v123
	v_add_f16_e32 v105, v125, v105
	v_pk_add_f16 v125, v39, v40 neg_lo:[0,1] neg_hi:[0,1]
	v_pk_add_f16 v39, v40, v39
	v_mul_f16_e32 v123, 0xb08e, v126
	v_fmamk_f16 v126, v38, 0xb08e, v120
	v_add_f16_e64 v115, v128, v115
	v_pk_mul_f16 v40, 0xbbeb, v125 op_sel_hi:[0,1]
	v_lshrrev_b32_e32 v129, 16, v39
	v_fmamk_f16 v127, v114, 0xbbeb, v123
	v_lshrrev_b32_e32 v128, 16, v125
	v_add_f16_e32 v121, v126, v121
	v_pk_fma_f16 v126, 0xb08e, v39, v40 op_sel:[0,0,1] op_sel_hi:[0,1,0]
	v_pk_fma_f16 v40, 0xb08e, v39, v40 op_sel:[0,0,1] op_sel_hi:[0,1,0] neg_lo:[0,0,1] neg_hi:[0,0,1]
	v_fma_f16 v120, v38, 0xb08e, -v120
	v_fmac_f16_e32 v123, 0x3beb, v114
	v_mul_f16_e64 v132, 0xbbad, v129
	v_add_f16_e32 v122, v127, v122
	v_mul_f16_e64 v127, 0x3482, v128
	v_bfi_b32 v130, 0xffff, v126, v40
	v_add_f16_e32 v109, v120, v109
	v_add_f16_e32 v108, v123, v108
	v_fma_f16 v120, 0xb482, v125, v132
	v_mul_f16_e64 v123, 0x3b47, v128
	v_fma_f16 v131, 0xbbad, v39, v127
	v_pk_add_f16 v110, v130, v110
	v_mul_f16_e64 v130, 0x36a6, v129
	v_add_f16_e32 v117, v120, v117
	v_fmamk_f16 v120, v39, 0x36a6, v123
	v_fma_f16 v123, v39, 0x36a6, -v123
	v_add_f16_e64 v116, v131, v116
	v_fma_f16 v127, v39, 0xbbad, -v127
	v_fma_f16 v131, 0xbb47, v125, v130
	v_add_f16_e32 v118, v120, v118
	v_mul_f16_e64 v120, 0xb853, v128
	v_add_f16_e32 v105, v123, v105
	v_pk_add_f16 v123, v34, v37 neg_lo:[0,1] neg_hi:[0,1]
	v_pk_add_f16 v34, v37, v34
	v_add_f16_e32 v112, v127, v112
	v_add_f16_e64 v119, v131, v119
	v_mul_f16_e64 v127, 0x3abb, v129
	v_fmac_f16_e64 v130, 0x3b47, v125
	v_fma_f16 v128, 0x3abb, v39, v120
	v_pk_mul_f16 v37, 0xba0c, v123 op_sel_hi:[0,1]
	v_lshrrev_b32_e32 v131, 16, v34
	v_fmac_f16_e64 v132, 0x3482, v125
	v_fma_f16 v129, 0x3853, v125, v127
	v_add_f16_e64 v115, v130, v115
	v_lshrrev_b32_e32 v130, 16, v123
	v_add_f16_e64 v121, v128, v121
	v_pk_fma_f16 v128, 0xb93d, v34, v37 op_sel:[0,0,1] op_sel_hi:[0,1,0]
	v_pk_fma_f16 v37, 0xb93d, v34, v37 op_sel:[0,0,1] op_sel_hi:[0,1,0] neg_lo:[0,0,1] neg_hi:[0,0,1]
	v_fma_f16 v120, v39, 0x3abb, -v120
	v_fmac_f16_e32 v127, 0xb853, v125
	v_mul_f16_e64 v134, 0xb08e, v131
	v_add_f16_e64 v113, v132, v113
	v_add_f16_e64 v122, v129, v122
	v_mul_f16_e64 v129, 0x3beb, v130
	v_bfi_b32 v132, 0xffff, v128, v37
	v_add_f16_e32 v109, v120, v109
	v_add_f16_e32 v108, v127, v108
	v_fma_f16 v120, 0xbbeb, v123, v134
	v_mul_f16_e64 v127, 0xb853, v130
	v_fma_f16 v133, 0xb08e, v34, v129
	v_pk_add_f16 v110, v132, v110
	v_mul_f16_e64 v132, 0x3abb, v131
	v_fma_f16 v129, v34, 0xb08e, -v129
	v_add_f16_e32 v117, v120, v117
	v_fmamk_f16 v120, v34, 0x3abb, v127
	v_fma_f16 v127, v34, 0x3abb, -v127
	v_add_f16_e64 v116, v133, v116
	v_fma_f16 v133, 0x3853, v123, v132
	v_add_f16_e64 v112, v129, v112
	v_add_f16_e32 v118, v120, v118
	v_mul_f16_e64 v120, 0xb482, v130
	v_mul_f16_e64 v129, 0xbbad, v131
	v_add_f16_e32 v105, v127, v105
	v_pk_add_f16 v127, v35, v36 neg_lo:[0,1] neg_hi:[0,1]
	v_fmac_f16_e64 v132, 0xb853, v123
	v_fma_f16 v130, 0xbbad, v34, v120
	v_fma_f16 v131, 0x3482, v123, v129
	v_pk_add_f16 v35, v36, v35
	v_pk_mul_f16 v36, 0xb482, v127 op_sel_hi:[0,1]
	v_add_f16_e64 v115, v132, v115
	v_lshrrev_b32_e32 v132, 16, v127
	v_fmac_f16_e64 v134, 0x3beb, v123
	v_add_f16_e64 v119, v133, v119
	v_add_f16_e64 v121, v130, v121
	;; [unrolled: 1-line block ×3, first 2 shown]
	v_pk_fma_f16 v130, 0xbbad, v35, v36 op_sel:[0,0,1] op_sel_hi:[0,1,0]
	v_pk_fma_f16 v36, 0xbbad, v35, v36 op_sel:[0,0,1] op_sel_hi:[0,1,0] neg_lo:[0,0,1] neg_hi:[0,0,1]
	v_mul_f16_e64 v131, 0x3853, v132
	v_fma_f16 v120, v34, 0xbbad, -v120
	v_lshrrev_b32_e32 v133, 16, v35
	v_add_f16_e64 v113, v134, v113
	v_fmac_f16_e64 v129, 0xb482, v123
	v_bfi_b32 v134, 0xffff, v130, v36
	v_fma_f16 v135, 0x3abb, v35, v131
	v_add_f16_e32 v109, v120, v109
	v_mul_f16_e64 v120, 0x3abb, v133
	v_add_f16_e64 v108, v129, v108
	v_pk_add_f16 v110, v134, v110
	v_add_f16_e64 v116, v135, v116
	v_mul_f16_e64 v129, 0xba0c, v132
	v_fma_f16 v134, 0xb853, v127, v120
	v_fma_f16 v131, v35, 0x3abb, -v131
	v_fmac_f16_e32 v120, 0x3853, v127
	v_mul_f16_e64 v135, 0xb93d, v133
	v_fma_f16 v136, 0xb93d, v35, v129
	v_fma_f16 v129, v35, 0xb93d, -v129
	v_add_f16_e64 v112, v131, v112
	v_add_f16_e32 v113, v120, v113
	v_fma_f16 v120, 0x3a0c, v127, v135
	v_mul_f16_e64 v131, 0x3b47, v132
	v_add_f16_e64 v105, v129, v105
	v_pk_mul_f16 v38, 0x3abb, v38 op_sel_hi:[0,1]
	v_add_f16_e64 v117, v134, v117
	v_add_f16_e32 v119, v120, v119
	v_mul_f16_e64 v120, 0x36a6, v133
	v_fma_f16 v129, 0x36a6, v35, v131
	v_add_f16_e64 v118, v136, v118
	v_pk_mul_f16 v39, 0xb93d, v39 op_sel_hi:[0,1]
	v_pack_b32_f16 v116, v116, v117
	v_fma_f16 v132, 0xbb47, v127, v120
	v_fmac_f16_e32 v120, 0x3b47, v127
	v_add_f16_e64 v121, v129, v121
	v_pk_fma_f16 v129, 0xb482, v106, v33 op_sel:[0,0,1] op_sel_hi:[0,1,0]
	v_pk_fma_f16 v33, 0xb482, v106, v33 op_sel:[0,0,1] op_sel_hi:[0,1,0] neg_lo:[0,1,0] neg_hi:[0,1,0]
	v_pk_fma_f16 v106, 0x3853, v114, v38 op_sel:[0,0,1] op_sel_hi:[0,1,0]
	v_add_f16_e32 v108, v120, v108
	v_pack_b32_f16 v118, v118, v119
	v_alignbit_b32 v120, s0, v129, 16
	v_alignbit_b32 v119, s0, v32, 16
	v_pk_add_f16 v33, v32, v33 op_sel:[1,0] op_sel_hi:[0,1]
	v_pk_fma_f16 v38, 0x3853, v114, v38 op_sel:[0,0,1] op_sel_hi:[0,1,0] neg_lo:[0,1,0] neg_hi:[0,1,0]
	v_pk_fma_f16 v114, 0xba0c, v125, v39 op_sel:[0,0,1] op_sel_hi:[0,1,0]
	v_pk_add_f16 v117, v32, v120
	v_alignbit_b32 v120, s0, v106, 16
	v_pk_mul_f16 v34, 0x36a6, v34 op_sel_hi:[0,1]
	v_pk_add_f16 v119, v119, v129
	v_pk_add_f16 v33, v38, v33
	v_alignbit_b32 v38, s0, v114, 16
	v_pk_add_f16 v117, v120, v117
	v_pk_fma_f16 v39, 0xba0c, v125, v39 op_sel:[0,0,1] op_sel_hi:[0,1,0] neg_lo:[0,1,0] neg_hi:[0,1,0]
	v_pk_fma_f16 v120, 0x3b47, v123, v34 op_sel:[0,0,1] op_sel_hi:[0,1,0]
	v_fma_f16 v131, v35, 0x36a6, -v131
	v_pk_add_f16 v106, v106, v119
	v_pk_add_f16 v38, v38, v117
	;; [unrolled: 1-line block ×3, first 2 shown]
	v_alignbit_b32 v39, s0, v120, 16
	v_pk_mul_f16 v35, 0xb08e, v35 op_sel_hi:[0,1]
	v_pk_add_f16 v32, v32, v107
	v_pk_add_f16 v106, v114, v106
	v_pk_fma_f16 v34, 0x3b47, v123, v34 op_sel:[0,0,1] op_sel_hi:[0,1,0] neg_lo:[0,1,0] neg_hi:[0,1,0]
	v_pk_add_f16 v38, v39, v38
	v_pk_fma_f16 v39, 0xbbeb, v127, v35 op_sel:[0,0,1] op_sel_hi:[0,1,0]
	v_pk_add_f16 v32, v41, v32
	v_bfi_b32 v40, 0xffff, v40, v126
	v_pk_add_f16 v33, v34, v33
	v_pk_fma_f16 v34, 0xbbeb, v127, v35 op_sel:[0,0,1] op_sel_hi:[0,1,0] neg_lo:[0,1,0] neg_hi:[0,1,0]
	v_pk_add_f16 v35, v120, v106
	v_alignbit_b32 v41, s0, v39, 16
	v_fmac_f16_e64 v135, 0xba0c, v127
	v_pk_add_f16 v32, v40, v32
	v_bfi_b32 v37, 0xffff, v37, v128
	v_add_f16_e64 v122, v132, v122
	v_pk_add_f16 v33, v34, v33
	v_pk_add_f16 v34, v39, v35
	;; [unrolled: 1-line block ×3, first 2 shown]
	v_add_f16_e64 v115, v135, v115
	v_add_f16_e64 v109, v131, v109
	v_pk_add_f16 v32, v37, v32
	v_bfi_b32 v36, 0xffff, v36, v130
	v_pack_b32_f16 v38, v121, v122
	v_alignbit_b32 v34, v34, v33, 16
	v_pack_b32_f16 v33, v35, v33
	v_pack_b32_f16 v35, v105, v115
	;; [unrolled: 1-line block ×3, first 2 shown]
	global_wb scope:SCOPE_SE
	s_barrier_signal -1
	s_barrier_wait -1
	global_inv scope:SCOPE_SE
	v_pk_add_f16 v32, v36, v32
	v_pack_b32_f16 v36, v112, v113
	ds_store_2addr_b32 v87, v104, v110 offset1:1
	ds_store_2addr_b32 v87, v116, v118 offset0:2 offset1:3
	ds_store_b32 v87, v38 offset:16
	ds_store_2addr_b32 v87, v33, v34 offset0:5 offset1:6
	ds_store_2addr_b32 v87, v37, v35 offset0:7 offset1:8
	ds_store_2addr_b32 v87, v36, v32 offset0:9 offset1:10
	s_and_saveexec_b32 s0, vcc_lo
	s_cbranch_execz .LBB0_13
; %bb.12:
	v_lshrrev_b32_e32 v32, 16, v77
	v_sub_f16_e32 v33, v31, v70
	v_add_f16_e32 v34, v71, v103
	v_sub_f16_e32 v35, v27, v12
	v_add_f16_e32 v36, v72, v101
	v_add_f16_e32 v37, v32, v102
	v_sub_f16_e32 v109, v102, v32
	v_mul_f16_e32 v107, 0x3abb, v34
	v_sub_f16_e32 v38, v29, v11
	v_add_f16_e32 v105, v70, v31
	v_mul_f16_e32 v87, 0xbbad, v37
	v_sub_f16_e32 v110, v103, v71
	v_mul_f16_e32 v111, 0xb93d, v36
	v_fmamk_f16 v112, v35, 0xb853, v107
	v_mul_f16_e32 v113, 0xb482, v109
	v_fmamk_f16 v108, v33, 0x3482, v87
	v_add_f16_e32 v106, v12, v27
	v_sub_f16_e32 v114, v101, v72
	v_fmamk_f16 v116, v38, 0x3a0c, v111
	v_mul_f16_e32 v117, 0x3853, v110
	v_add_f16_e32 v108, v100, v108
	v_add_f16_e32 v120, v11, v29
	v_mul_f16_e32 v121, 0xba0c, v114
	v_mul_f16_e32 v122, 0xb93d, v37
	;; [unrolled: 1-line block ×3, first 2 shown]
	v_add_f16_e32 v108, v112, v108
	v_fmamk_f16 v112, v105, 0xbbad, v113
	v_add_f16_e32 v39, v73, v74
	v_mul_f16_e64 v128, 0x3abb, v36
	v_fmamk_f16 v127, v35, 0xbbeb, v123
	v_add_f16_e32 v108, v116, v108
	v_add_f16_e32 v112, v28, v112
	v_fmamk_f16 v116, v106, 0x3abb, v117
	v_sub_f16_e32 v40, v15, v14
	v_add_f16_e32 v41, v76, v75
	v_mul_f16_e64 v132, 0xbbad, v39
	v_sub_f16_e32 v104, v77, v13
	v_add_f16_e32 v112, v116, v112
	v_fmamk_f16 v116, v120, 0xb93d, v121
	v_mul_f16_e64 v134, 0x36a6, v41
	v_mul_f16_e64 v136, 0xb08e, v37
	;; [unrolled: 1-line block ×4, first 2 shown]
	v_add_f16_e32 v112, v116, v112
	v_fmamk_f16 v116, v33, 0x3a0c, v122
	v_mul_f16_e64 v144, 0x3abb, v39
	v_fma_f16 v141, 0xb482, v35, v139
	v_mul_f16_e64 v146, 0xb93d, v41
	v_mul_f16_e64 v148, 0x36a6, v37
	v_add_f16_e32 v116, v100, v116
	v_mul_f16_e64 v151, 0xb93d, v34
	v_mul_f16_e64 v154, 0xbbad, v36
	;; [unrolled: 1-line block ×4, first 2 shown]
	v_add_f16_e32 v116, v127, v116
	v_fma_f16 v127, 0x3853, v38, v128
	v_fma_f16 v153, 0x3a0c, v35, v151
	v_mul_f16_e32 v37, 0x3abb, v37
	v_mul_f16_e32 v115, 0x36a6, v39
	;; [unrolled: 1-line block ×3, first 2 shown]
	v_add_f16_e32 v116, v127, v116
	v_fma_f16 v127, 0x3482, v40, v132
	v_mul_f16_e32 v118, 0xb08e, v41
	v_fmamk_f16 v119, v40, 0xbb47, v115
	v_fma_f16 v163, 0x3b47, v35, v34
	v_mul_f16_e32 v36, 0xb08e, v36
	v_add_f16_e32 v116, v127, v116
	v_fma_f16 v127, 0xbb47, v104, v134
	v_add_f16_e32 v108, v119, v108
	v_fmamk_f16 v119, v104, 0x3beb, v118
	v_mul_f16_e32 v39, 0xb93d, v39
	v_add_f16_e32 v31, v31, v28
	v_add_f16_e32 v116, v127, v116
	v_fma_f16 v127, 0x3beb, v33, v136
	v_add_f16_e32 v108, v119, v108
	v_sub_f16_e32 v119, v74, v73
	v_mul_f16_e64 v133, 0xba0c, v109
	v_mul_f16_e64 v145, 0xbbeb, v109
	v_add_f16_e32 v127, v100, v127
	v_mul_f16_e64 v157, 0xbb47, v109
	v_mul_f16_e32 v109, 0xb853, v109
	v_add_f16_e32 v27, v27, v31
	v_add_f16_e32 v31, v102, v100
	v_add_f16_e64 v127, v141, v127
	v_fma_f16 v141, 0xbb47, v38, v142
	v_add_f16_e32 v124, v14, v15
	v_mul_f16_e32 v125, 0x3b47, v119
	v_sub_f16_e32 v126, v75, v76
	v_mul_f16_e64 v135, 0x3beb, v110
	v_add_f16_e64 v127, v141, v127
	v_fma_f16 v141, 0x3853, v40, v144
	v_mul_f16_e64 v147, 0x3482, v110
	v_mul_f16_e64 v159, 0xba0c, v110
	v_mul_f16_e32 v110, 0xbb47, v110
	v_add_f16_e32 v27, v29, v27
	v_add_f16_e64 v127, v141, v127
	v_fma_f16 v141, 0x3a0c, v104, v146
	v_add_f16_e32 v29, v103, v31
	v_fma_f16 v129, 0x36a6, v124, v125
	v_add_f16_e64 v130, v13, v77
	v_mul_f16_e64 v131, 0xbbeb, v126
	v_add_f16_e64 v127, v141, v127
	v_fma_f16 v141, 0x3b47, v33, v148
	v_mul_f16_e32 v31, 0xbbad, v41
	v_fmamk_f16 v103, v106, 0x36a6, v110
	v_add_f16_e32 v15, v15, v27
	v_add_f16_e32 v27, v101, v29
	v_add_f16_e64 v141, v100, v141
	v_mul_f16_e32 v29, 0xbbeb, v114
	v_add_f16_e64 v112, v129, v112
	v_fma_f16 v129, 0xb08e, v130, v131
	v_add_f16_e32 v15, v77, v15
	v_add_f16_e64 v141, v153, v141
	v_fma_f16 v153, 0xb482, v38, v154
	v_add_f16_e32 v27, v74, v27
	v_fmamk_f16 v74, v120, 0xb08e, v29
	v_mul_f16_e32 v77, 0xba0c, v119
	v_add_f16_e64 v112, v129, v112
	v_add_f16_e64 v141, v153, v141
	v_fma_f16 v153, 0xbbeb, v40, v156
	v_fma_f16 v129, 0xb93d, v105, v133
	v_add_f16_e32 v13, v13, v15
	v_add_f16_e32 v15, v75, v27
	v_fma_f16 v137, 0xb08e, v106, v135
	v_add_f16_e64 v141, v153, v141
	v_fma_f16 v153, 0xb853, v104, v158
	v_add_f16_e64 v129, v28, v129
	v_mul_f16_e64 v138, 0xb853, v114
	v_add_f16_e32 v13, v14, v13
	v_add_f16_e32 v14, v76, v15
	v_add_f16_e64 v141, v153, v141
	v_fma_f16 v153, 0x3853, v33, v37
	v_fmac_f16_e32 v87, 0xb482, v33
	v_add_f16_e64 v129, v137, v129
	v_fma_f16 v137, 0x3abb, v120, v138
	v_mul_f16_e64 v140, 0xb482, v119
	v_add_f16_e64 v153, v100, v153
	v_add_f16_e32 v11, v11, v13
	v_add_f16_e32 v13, v73, v14
	v_add_f16_e32 v14, v100, v87
	v_fmac_f16_e32 v107, 0x3853, v35
	v_add_f16_e64 v153, v163, v153
	v_fma_f16 v163, 0x3beb, v38, v36
	v_add_f16_e64 v129, v137, v129
	v_fma_f16 v137, 0xbbad, v124, v140
	v_mul_f16_e64 v143, 0x3b47, v126
	v_add_f16_e32 v11, v12, v11
	v_add_f16_e64 v153, v163, v153
	v_fma_f16 v163, 0x3a0c, v40, v39
	v_add_f16_e32 v12, v72, v13
	v_add_f16_e32 v13, v107, v14
	v_add_f16_e64 v129, v137, v129
	v_fma_f16 v137, 0x36a6, v130, v143
	v_add_f16_e64 v102, v163, v153
	v_fma_f16 v153, 0x3abb, v105, v109
	v_add_f16_e32 v12, v71, v12
	v_fmac_f16_e32 v122, 0xba0c, v33
	v_add_f16_e64 v129, v137, v129
	v_fma_f16 v137, 0xb08e, v105, v145
	v_add_f16_e64 v41, v28, v153
	v_add_f16_e32 v12, v32, v12
	v_add_f16_e32 v32, v100, v122
	v_fmac_f16_e32 v123, 0x3beb, v35
	v_add_f16_e64 v137, v28, v137
	v_add_f16_e32 v41, v103, v41
	v_fma_f16 v149, 0xbbad, v106, v147
	v_mul_f16_e64 v150, 0x3b47, v114
	v_add_f16_e32 v11, v70, v11
	v_add_f16_e32 v32, v123, v32
	;; [unrolled: 1-line block ×3, first 2 shown]
	v_fmamk_f16 v41, v124, 0xb93d, v77
	v_mul_f16_e32 v74, 0xb482, v126
	v_fmac_f16_e64 v128, 0xb853, v38
	v_fma_f16 v70, v106, 0xb08e, -v135
	v_add_f16_e64 v137, v149, v137
	v_add_f16_e32 v15, v41, v27
	v_fma_f16 v27, 0xbbad, v130, v74
	v_fma_f16 v41, v105, 0xb93d, -v133
	v_fma_f16 v149, 0x36a6, v120, v150
	v_mul_f16_e64 v152, 0xb853, v119
	v_mul_f16_e64 v155, 0xba0c, v126
	v_add_f16_e32 v15, v27, v15
	v_fma_f16 v27, v105, 0xbbad, -v113
	v_add_f16_e32 v41, v28, v41
	v_add_f16_e64 v137, v149, v137
	v_fma_f16 v149, 0x3abb, v124, v152
	v_fmac_f16_e64 v136, 0xbbeb, v33
	v_add_f16_e32 v14, v28, v27
	v_fma_f16 v27, v106, 0x3abb, -v117
	v_fmac_f16_e64 v139, 0x3482, v35
	v_add_f16_e64 v137, v149, v137
	v_fma_f16 v149, 0xb93d, v130, v155
	v_fma_f16 v73, v130, 0x36a6, -v143
	v_add_f16_e32 v14, v27, v14
	v_fma_f16 v27, v120, 0xb93d, -v121
	v_fmac_f16_e64 v142, 0x3b47, v38
	v_add_f16_e64 v137, v149, v137
	v_fma_f16 v149, 0x36a6, v105, v157
	v_fma_f16 v71, v105, 0xb08e, -v145
	v_add_f16_e32 v14, v27, v14
	v_fma_f16 v27, v124, 0x36a6, -v125
	v_fmac_f16_e64 v148, 0xbb47, v33
	v_fmac_f16_e32 v37, 0xb853, v33
	v_fma_f16 v33, v105, 0x3abb, -v109
	v_add_f16_e64 v149, v28, v149
	v_add_f16_e32 v14, v27, v14
	v_fma_f16 v27, v130, 0xb08e, -v131
	v_fma_f16 v160, 0xb93d, v106, v159
	v_mul_f16_e64 v161, 0x3482, v114
	v_add_f16_e64 v72, v100, v148
	v_fmac_f16_e64 v151, 0xba0c, v35
	v_add_f16_e32 v14, v27, v14
	v_add_f16_e64 v27, v128, v32
	v_add_f16_e32 v32, v70, v41
	v_fma_f16 v41, v120, 0x3abb, -v138
	v_add_f16_e64 v70, v100, v136
	v_fma_f16 v75, v106, 0xb93d, -v159
	v_add_f16_e32 v37, v100, v37
	v_fmac_f16_e32 v34, 0xbb47, v35
	v_add_f16_e32 v32, v41, v32
	v_fma_f16 v41, v124, 0xbbad, -v140
	v_add_f16_e64 v70, v139, v70
	v_add_f16_e64 v149, v160, v149
	v_fma_f16 v160, 0xbbad, v120, v161
	v_mul_f16_e64 v162, 0x3beb, v119
	v_add_f16_e32 v32, v41, v32
	v_add_f16_e64 v41, v142, v70
	v_add_f16_e32 v70, v28, v71
	v_fma_f16 v71, v106, 0xbbad, -v147
	v_fmac_f16_e32 v111, 0xba0c, v38
	v_add_f16_e32 v32, v73, v32
	v_fma_f16 v73, v105, 0x36a6, -v157
	v_add_f16_e64 v72, v151, v72
	v_add_f16_e32 v70, v71, v70
	v_fma_f16 v71, v120, 0x36a6, -v150
	v_fmac_f16_e64 v154, 0x3482, v38
	v_add_f16_e32 v73, v28, v73
	v_add_f16_e32 v28, v28, v33
	v_fma_f16 v33, v106, 0x36a6, -v110
	v_add_f16_e32 v34, v34, v37
	v_fmac_f16_e32 v36, 0xbbeb, v38
	v_add_f16_e32 v35, v75, v73
	v_fma_f16 v73, v120, 0xbbad, -v161
	v_add_f16_e32 v28, v33, v28
	v_fma_f16 v29, v120, 0xb08e, -v29
	v_add_f16_e64 v149, v160, v149
	v_fma_f16 v160, 0xb08e, v124, v162
	v_mul_f16_e64 v164, 0x3853, v126
	v_add_f16_e32 v13, v111, v13
	v_fmac_f16_e32 v115, 0x3b47, v40
	v_fmac_f16_e64 v132, 0xb482, v40
	v_fmac_f16_e64 v144, 0xb853, v40
	v_add_f16_e32 v70, v71, v70
	v_fma_f16 v71, v124, 0x3abb, -v152
	v_add_f16_e64 v72, v154, v72
	v_fmac_f16_e64 v156, 0x3beb, v40
	v_add_f16_e32 v33, v73, v35
	v_fma_f16 v35, v124, 0xb08e, -v162
	v_fmamk_f16 v101, v104, 0x3482, v31
	v_add_f16_e32 v34, v36, v34
	v_fmac_f16_e32 v39, 0xba0c, v40
	v_add_f16_e32 v28, v29, v28
	v_fma_f16 v29, v124, 0xb93d, -v77
	v_add_f16_e64 v149, v160, v149
	v_fma_f16 v160, 0x3abb, v130, v164
	v_add_f16_e32 v13, v115, v13
	v_fmac_f16_e32 v118, 0xbbeb, v104
	v_add_f16_e64 v27, v132, v27
	v_fmac_f16_e64 v134, 0x3b47, v104
	v_add_f16_e64 v41, v144, v41
	v_fmac_f16_e64 v146, 0xba0c, v104
	v_add_f16_e32 v70, v71, v70
	v_fma_f16 v71, v130, 0xb93d, -v155
	v_add_f16_e64 v72, v156, v72
	v_fmac_f16_e64 v158, 0x3853, v104
	v_add_f16_e32 v33, v35, v33
	v_fma_f16 v35, v130, 0x3abb, -v164
	v_add_f16_e32 v101, v101, v102
	v_add_f16_e32 v34, v39, v34
	v_fmac_f16_e32 v31, 0xb482, v104
	v_add_f16_e32 v28, v29, v28
	v_fma_f16 v29, v130, 0xbbad, -v74
	v_add_f16_e64 v149, v160, v149
	v_add_f16_e32 v13, v118, v13
	v_add_f16_e64 v27, v134, v27
	v_add_f16_e64 v41, v146, v41
	v_add_f16_e32 v36, v71, v70
	v_add_f16_e64 v37, v158, v72
	v_add_f16_e32 v33, v35, v33
	v_add_f16_e32 v31, v31, v34
	;; [unrolled: 1-line block ×3, first 2 shown]
	v_lshl_add_u32 v29, v78, 2, v69
	v_pack_b32_f16 v15, v15, v101
	v_pack_b32_f16 v11, v11, v12
	;; [unrolled: 1-line block ×11, first 2 shown]
	ds_store_2addr_b32 v29, v11, v15 offset1:1
	ds_store_2addr_b32 v29, v34, v12 offset0:2 offset1:3
	ds_store_2addr_b32 v29, v38, v35 offset0:4 offset1:5
	;; [unrolled: 1-line block ×4, first 2 shown]
	ds_store_b32 v29, v28 offset:40
.LBB0_13:
	s_wait_alu 0xfffe
	s_or_b32 exec_lo, exec_lo, s0
	global_wb scope:SCOPE_SE
	s_wait_dscnt 0x0
	s_barrier_signal -1
	s_barrier_wait -1
	global_inv scope:SCOPE_SE
	ds_load_2addr_b32 v[11:12], v42 offset1:11
	ds_load_2addr_b32 v[13:14], v42 offset0:22 offset1:33
	ds_load_2addr_b32 v[27:28], v42 offset0:66 offset1:77
	;; [unrolled: 1-line block ×6, first 2 shown]
	ds_load_b32 v15, v42 offset:616
	global_wb scope:SCOPE_SE
	s_wait_dscnt 0x0
	s_barrier_signal -1
	s_barrier_wait -1
	global_inv scope:SCOPE_SE
	s_mov_b32 s8, 0x8d3018d3
	s_mov_b32 s9, 0x3f78d301
	v_lshrrev_b32_e32 v29, 16, v11
	v_lshrrev_b32_e32 v39, 16, v14
	;; [unrolled: 1-line block ×4, first 2 shown]
	v_mul_f16_e32 v101, v94, v14
	v_lshrrev_b32_e32 v71, 16, v35
	v_mul_f16_e32 v100, v94, v39
	v_lshrrev_b32_e32 v69, 16, v33
	v_lshrrev_b32_e32 v72, 16, v28
	v_mul_f16_e32 v102, v93, v40
	v_mul_f16_e32 v103, v93, v27
	;; [unrolled: 1-line block ×3, first 2 shown]
	v_fmac_f16_e32 v100, v0, v14
	v_fma_f16 v14, v0, v39, -v101
	v_mul_f16_e32 v101, v94, v71
	v_lshrrev_b32_e32 v73, 16, v37
	v_lshrrev_b32_e32 v74, 16, v34
	v_fmac_f16_e32 v102, v1, v27
	v_fma_f16 v27, v1, v40, -v103
	v_fmac_f16_e32 v104, v2, v32
	v_mul_f16_e32 v32, v92, v32
	v_mul_f16_e32 v39, v91, v69
	;; [unrolled: 1-line block ×4, first 2 shown]
	v_fmac_f16_e32 v101, v0, v35
	v_mul_f16_e32 v35, v93, v72
	v_lshrrev_b32_e32 v76, 16, v36
	v_lshrrev_b32_e32 v77, 16, v31
	v_fma_f16 v32, v2, v41, -v32
	v_fmac_f16_e32 v39, v3, v33
	v_fma_f16 v33, v3, v69, -v40
	v_fma_f16 v0, v0, v71, -v94
	v_mul_f16_e32 v40, v93, v28
	v_mul_f16_e32 v41, v92, v73
	;; [unrolled: 1-line block ×4, first 2 shown]
	v_fmac_f16_e32 v35, v1, v28
	v_mul_f16_e32 v28, v91, v34
	v_lshrrev_b32_e32 v78, 16, v38
	v_fma_f16 v1, v1, v72, -v40
	v_fmac_f16_e32 v41, v2, v37
	v_fma_f16 v2, v2, v73, -v69
	v_fmac_f16_e32 v71, v3, v34
	v_mul_f16_e32 v34, v98, v76
	v_mul_f16_e32 v40, v97, v77
	;; [unrolled: 1-line block ×3, first 2 shown]
	v_fma_f16 v3, v3, v74, -v28
	v_add_f16_e32 v28, v102, v104
	v_lshrrev_b32_e32 v87, 16, v15
	v_mul_f16_e32 v37, v98, v36
	v_fmac_f16_e32 v34, v4, v36
	v_fmac_f16_e32 v40, v5, v31
	v_fma_f16 v5, v5, v77, -v69
	v_mul_f16_e32 v31, v96, v78
	v_mul_f16_e32 v36, v96, v38
	v_add_f16_e32 v69, v11, v100
	v_fma_f16 v28, -0.5, v28, v11
	v_sub_f16_e32 v72, v14, v33
	v_fma_f16 v4, v4, v76, -v37
	v_mul_f16_e32 v37, v95, v87
	v_fmac_f16_e32 v31, v6, v38
	v_fma_f16 v6, v6, v78, -v36
	v_add_f16_e32 v36, v69, v102
	v_fmamk_f16 v38, v72, 0xbb9c, v28
	v_sub_f16_e32 v69, v27, v32
	v_sub_f16_e32 v73, v100, v102
	;; [unrolled: 1-line block ×3, first 2 shown]
	v_add_f16_e32 v76, v100, v39
	v_fmac_f16_e32 v28, 0x3b9c, v72
	v_fmac_f16_e32 v37, v7, v15
	v_mul_f16_e32 v15, v95, v15
	v_add_f16_e32 v36, v36, v104
	v_fmac_f16_e32 v38, 0xb8b4, v69
	v_add_f16_e32 v73, v73, v74
	v_fma_f16 v11, -0.5, v76, v11
	v_sub_f16_e32 v74, v102, v100
	v_sub_f16_e32 v76, v104, v39
	v_fmac_f16_e32 v28, 0x38b4, v69
	v_add_f16_e32 v77, v29, v14
	v_add_f16_e32 v78, v27, v32
	v_fma_f16 v7, v7, v87, -v15
	v_add_f16_e32 v15, v36, v39
	v_fmac_f16_e32 v38, 0x34f2, v73
	v_fmamk_f16 v36, v69, 0x3b9c, v11
	v_add_f16_e32 v74, v74, v76
	v_fmac_f16_e32 v11, 0xbb9c, v69
	v_add_f16_e32 v69, v77, v27
	v_fma_f16 v76, -0.5, v78, v29
	v_sub_f16_e32 v39, v100, v39
	v_fmac_f16_e32 v28, 0x34f2, v73
	v_add_f16_e32 v73, v14, v33
	v_sub_f16_e32 v78, v14, v27
	v_sub_f16_e32 v14, v27, v14
	;; [unrolled: 1-line block ×3, first 2 shown]
	v_fmac_f16_e32 v36, 0xb8b4, v72
	v_fmac_f16_e32 v11, 0x38b4, v72
	v_add_f16_e32 v69, v69, v32
	v_fmamk_f16 v72, v39, 0x3b9c, v76
	v_sub_f16_e32 v77, v102, v104
	v_sub_f16_e32 v87, v33, v32
	v_fmac_f16_e32 v29, -0.5, v73
	v_fmac_f16_e32 v76, 0xbb9c, v39
	v_add_f16_e32 v32, v35, v41
	v_add_f16_e32 v14, v14, v27
	;; [unrolled: 1-line block ×3, first 2 shown]
	v_lshrrev_b32_e32 v70, 16, v12
	v_fmac_f16_e32 v36, 0x34f2, v74
	v_fmac_f16_e32 v11, 0x34f2, v74
	v_add_f16_e32 v69, v69, v33
	v_fmac_f16_e32 v72, 0x38b4, v77
	v_add_f16_e32 v73, v78, v87
	v_fmamk_f16 v74, v77, 0xbb9c, v29
	v_fmac_f16_e32 v76, 0xb8b4, v77
	v_fma_f16 v32, -0.5, v32, v12
	v_sub_f16_e32 v33, v0, v3
	v_fmac_f16_e32 v29, 0x3b9c, v77
	v_add_f16_e32 v27, v27, v35
	v_add_f16_e32 v91, v101, v71
	v_fmac_f16_e32 v72, 0x34f2, v73
	v_fmac_f16_e32 v74, 0x38b4, v39
	;; [unrolled: 1-line block ×3, first 2 shown]
	v_fmamk_f16 v73, v33, 0xbb9c, v32
	v_sub_f16_e32 v77, v1, v2
	v_sub_f16_e32 v78, v101, v35
	v_sub_f16_e32 v87, v71, v41
	v_fmac_f16_e32 v29, 0xb8b4, v39
	v_add_f16_e32 v27, v27, v41
	v_fmac_f16_e32 v12, -0.5, v91
	v_fmac_f16_e32 v32, 0x3b9c, v33
	v_add_f16_e32 v91, v70, v0
	v_fmac_f16_e32 v74, 0x34f2, v14
	v_fmac_f16_e32 v73, 0xb8b4, v77
	v_add_f16_e32 v39, v78, v87
	v_fmac_f16_e32 v29, 0x34f2, v14
	v_add_f16_e32 v14, v27, v71
	v_fmamk_f16 v27, v77, 0x3b9c, v12
	v_sub_f16_e32 v78, v35, v101
	v_sub_f16_e32 v87, v41, v71
	v_fmac_f16_e32 v32, 0x38b4, v77
	v_add_f16_e32 v92, v1, v2
	v_fmac_f16_e32 v12, 0xbb9c, v77
	v_add_f16_e32 v77, v91, v1
	;; [unrolled: 2-line block ×3, first 2 shown]
	v_fma_f16 v87, -0.5, v92, v70
	v_sub_f16_e32 v71, v101, v71
	v_fmac_f16_e32 v12, 0x38b4, v33
	v_add_f16_e32 v33, v77, v2
	v_add_f16_e32 v77, v0, v3
	v_fmac_f16_e32 v73, 0x34f2, v39
	v_fmac_f16_e32 v32, 0x34f2, v39
	v_fmamk_f16 v39, v71, 0x3b9c, v87
	v_sub_f16_e32 v35, v35, v41
	v_sub_f16_e32 v41, v0, v1
	;; [unrolled: 1-line block ×3, first 2 shown]
	v_fmac_f16_e32 v70, -0.5, v77
	v_fmac_f16_e32 v87, 0xbb9c, v71
	v_sub_f16_e32 v0, v1, v0
	v_sub_f16_e32 v1, v2, v3
	v_add_f16_e32 v2, v40, v31
	v_add_f16_e32 v33, v33, v3
	v_fmac_f16_e32 v39, 0x38b4, v35
	v_add_f16_e32 v41, v41, v91
	v_fmamk_f16 v77, v35, 0xbb9c, v70
	v_fmac_f16_e32 v87, 0xb8b4, v35
	v_add_f16_e32 v0, v0, v1
	v_fmac_f16_e32 v70, 0x3b9c, v35
	v_add_f16_e32 v1, v13, v34
	v_fma_f16 v2, -0.5, v2, v13
	v_sub_f16_e32 v3, v4, v7
	v_fmac_f16_e32 v27, 0x34f2, v78
	v_fmac_f16_e32 v12, 0x34f2, v78
	;; [unrolled: 1-line block ×6, first 2 shown]
	v_add_f16_e32 v1, v1, v40
	v_fmamk_f16 v35, v3, 0xbb9c, v2
	v_sub_f16_e32 v41, v5, v6
	v_sub_f16_e32 v71, v34, v40
	;; [unrolled: 1-line block ×3, first 2 shown]
	v_fmac_f16_e32 v2, 0x3b9c, v3
	v_add_f16_e32 v91, v34, v37
	v_lshrrev_b32_e32 v75, 16, v13
	v_add_f16_e32 v1, v1, v31
	v_fmac_f16_e32 v35, 0xb8b4, v41
	v_add_f16_e32 v71, v71, v78
	v_fmac_f16_e32 v2, 0x38b4, v41
	v_fmac_f16_e32 v13, -0.5, v91
	v_sub_f16_e32 v78, v40, v34
	v_sub_f16_e32 v91, v31, v37
	v_fmac_f16_e32 v77, 0x34f2, v0
	v_fmac_f16_e32 v70, 0x34f2, v0
	v_add_f16_e32 v0, v1, v37
	v_fmac_f16_e32 v35, 0x34f2, v71
	v_fmac_f16_e32 v2, 0x34f2, v71
	v_fmamk_f16 v1, v41, 0x3b9c, v13
	v_add_f16_e32 v71, v5, v6
	v_fmac_f16_e32 v13, 0xbb9c, v41
	v_sub_f16_e32 v34, v34, v37
	v_add_f16_e32 v37, v78, v91
	v_add_f16_e32 v78, v4, v7
	;; [unrolled: 1-line block ×3, first 2 shown]
	v_fma_f16 v71, -0.5, v71, v75
	v_fmac_f16_e32 v1, 0xb8b4, v3
	v_fmac_f16_e32 v13, 0x38b4, v3
	v_sub_f16_e32 v31, v40, v31
	v_fmac_f16_e32 v75, -0.5, v78
	v_add_f16_e32 v3, v41, v5
	v_fmac_f16_e32 v1, 0x34f2, v37
	v_fmac_f16_e32 v13, 0x34f2, v37
	v_sub_f16_e32 v37, v4, v5
	v_fmamk_f16 v78, v31, 0xbb9c, v75
	v_sub_f16_e32 v4, v5, v4
	v_sub_f16_e32 v5, v6, v7
	v_fmac_f16_e32 v75, 0x3b9c, v31
	v_fmamk_f16 v41, v34, 0x3b9c, v71
	v_sub_f16_e32 v40, v7, v6
	v_fmac_f16_e32 v71, 0xbb9c, v34
	v_fmac_f16_e32 v78, 0x38b4, v34
	v_add_f16_e32 v4, v4, v5
	v_fmac_f16_e32 v75, 0xb8b4, v34
	v_add_f16_e32 v3, v3, v6
	v_fmac_f16_e32 v41, 0x38b4, v31
	v_add_f16_e32 v6, v37, v40
	v_fmac_f16_e32 v71, 0xb8b4, v31
	v_fmac_f16_e32 v78, 0x34f2, v4
	;; [unrolled: 1-line block ×3, first 2 shown]
	v_pack_b32_f16 v4, v15, v69
	v_pack_b32_f16 v5, v38, v72
	v_add_f16_e32 v3, v3, v7
	v_fmac_f16_e32 v41, 0x34f2, v6
	v_fmac_f16_e32 v71, 0x34f2, v6
	v_pack_b32_f16 v6, v36, v74
	v_pack_b32_f16 v7, v11, v29
	;; [unrolled: 1-line block ×4, first 2 shown]
	ds_store_2addr_b32 v42, v4, v5 offset1:11
	ds_store_2addr_b32 v42, v6, v7 offset0:22 offset1:33
	ds_store_2addr_b32 v42, v11, v14 offset0:44 offset1:55
	v_pack_b32_f16 v4, v73, v39
	v_pack_b32_f16 v5, v27, v77
	;; [unrolled: 1-line block ×9, first 2 shown]
	ds_store_2addr_b32 v42, v4, v5 offset0:66 offset1:77
	ds_store_2addr_b32 v42, v6, v7 offset0:88 offset1:99
	;; [unrolled: 1-line block ×4, first 2 shown]
	ds_store_b32 v79, v2 offset:616
	global_wb scope:SCOPE_SE
	s_wait_dscnt 0x0
	s_barrier_signal -1
	s_barrier_wait -1
	global_inv scope:SCOPE_SE
	ds_load_2addr_b32 v[0:1], v42 offset1:11
	ds_load_2addr_b32 v[2:3], v42 offset0:44 offset1:55
	ds_load_2addr_b32 v[4:5], v42 offset0:110 offset1:121
	;; [unrolled: 1-line block ×6, first 2 shown]
	ds_load_b32 v15, v42 offset:616
	s_wait_dscnt 0x7
	v_lshrrev_b32_e32 v29, 16, v0
	s_wait_dscnt 0x6
	v_lshrrev_b32_e32 v31, 16, v3
	;; [unrolled: 2-line block ×4, first 2 shown]
	v_mul_f16_e32 v72, v90, v3
	v_lshrrev_b32_e32 v35, 16, v5
	v_mul_f16_e32 v70, v90, v31
	v_mul_f16_e32 v74, v89, v32
	v_lshrrev_b32_e32 v37, 16, v7
	s_wait_dscnt 0x2
	v_lshrrev_b32_e32 v38, 16, v13
	s_wait_dscnt 0x1
	v_lshrrev_b32_e32 v40, 16, v27
	v_fmac_f16_e32 v70, v21, v3
	v_mul_f16_e32 v3, v89, v4
	v_fma_f16 v21, v21, v31, -v72
	v_mul_f16_e32 v31, v88, v34
	v_fmac_f16_e32 v74, v22, v4
	v_mul_f16_e32 v4, v88, v6
	v_fma_f16 v3, v22, v32, -v3
	v_mul_f16_e32 v22, v86, v35
	;; [unrolled: 4-line block ×4, first 2 shown]
	v_lshrrev_b32_e32 v41, 16, v14
	v_fmac_f16_e32 v23, v25, v7
	v_mul_f16_e32 v7, v84, v13
	v_lshrrev_b32_e32 v71, 16, v28
	v_fma_f16 v5, v25, v37, -v5
	v_mul_f16_e32 v25, v83, v40
	v_fmac_f16_e32 v24, v26, v13
	v_mul_f16_e32 v13, v83, v27
	v_fma_f16 v7, v26, v38, -v7
	v_mul_f16_e32 v26, v82, v41
	s_wait_dscnt 0x0
	v_lshrrev_b32_e32 v73, 16, v15
	v_fmac_f16_e32 v25, v19, v27
	v_mul_f16_e32 v27, v82, v14
	v_fma_f16 v13, v19, v40, -v13
	v_mul_f16_e32 v19, v81, v71
	v_fmac_f16_e32 v26, v20, v14
	v_mul_f16_e32 v14, v81, v28
	v_fma_f16 v20, v20, v41, -v27
	v_mul_f16_e32 v27, v80, v73
	v_fmac_f16_e32 v19, v17, v28
	v_mul_f16_e32 v28, v80, v15
	v_fma_f16 v14, v17, v71, -v14
	v_add_f16_e32 v17, v70, v74
	v_fmac_f16_e32 v27, v18, v15
	v_add_f16_e32 v15, v0, v70
	v_fma_f16 v18, v18, v73, -v28
	v_add_f16_e32 v28, v21, v3
	v_fma_f16 v0, -0.5, v17, v0
	v_sub_f16_e32 v17, v21, v3
	v_add_f16_e32 v21, v29, v21
	v_lshrrev_b32_e32 v33, 16, v1
	v_fmac_f16_e32 v29, -0.5, v28
	v_sub_f16_e32 v28, v70, v74
	v_fmamk_f16 v32, v17, 0xbaee, v0
	v_fmac_f16_e32 v0, 0x3aee, v17
	v_add_f16_e32 v17, v31, v22
	v_add_f16_e32 v3, v21, v3
	v_fmamk_f16 v21, v28, 0x3aee, v29
	v_add_f16_e32 v34, v1, v31
	v_fmac_f16_e32 v29, 0xbaee, v28
	v_add_f16_e32 v28, v4, v6
	v_fmac_f16_e32 v1, -0.5, v17
	v_sub_f16_e32 v17, v4, v6
	v_add_f16_e32 v4, v33, v4
	v_add_f16_e32 v34, v34, v22
	v_fmac_f16_e32 v33, -0.5, v28
	v_sub_f16_e32 v22, v31, v22
	v_lshrrev_b32_e32 v36, 16, v11
	v_add_f16_e32 v4, v4, v6
	v_add_f16_e32 v6, v23, v24
	v_fmamk_f16 v28, v17, 0xbaee, v1
	v_fmac_f16_e32 v1, 0x3aee, v17
	v_fmamk_f16 v17, v22, 0x3aee, v33
	v_fmac_f16_e32 v33, 0xbaee, v22
	v_add_f16_e32 v22, v5, v7
	v_add_f16_e32 v31, v11, v23
	v_fma_f16 v6, -0.5, v6, v11
	v_sub_f16_e32 v11, v5, v7
	v_add_f16_e32 v5, v36, v5
	v_fmac_f16_e32 v36, -0.5, v22
	v_sub_f16_e32 v22, v23, v24
	v_lshrrev_b32_e32 v39, 16, v12
	v_fmamk_f16 v23, v11, 0xbaee, v6
	v_add_f16_e32 v5, v5, v7
	v_add_f16_e32 v7, v25, v26
	v_fmac_f16_e32 v6, 0x3aee, v11
	v_fmamk_f16 v11, v22, 0x3aee, v36
	v_fmac_f16_e32 v36, 0xbaee, v22
	v_add_f16_e32 v22, v13, v20
	v_add_f16_e32 v31, v31, v24
	;; [unrolled: 1-line block ×3, first 2 shown]
	v_fmac_f16_e32 v12, -0.5, v7
	v_sub_f16_e32 v7, v13, v20
	v_add_f16_e32 v13, v39, v13
	v_fmac_f16_e32 v39, -0.5, v22
	v_sub_f16_e32 v22, v25, v26
	v_lshrrev_b32_e32 v69, 16, v2
	v_fmamk_f16 v25, v7, 0xbaee, v12
	v_fmac_f16_e32 v12, 0x3aee, v7
	v_add_f16_e32 v7, v13, v20
	v_add_f16_e32 v13, v19, v27
	v_fmamk_f16 v20, v22, 0x3aee, v39
	v_fmac_f16_e32 v39, 0xbaee, v22
	v_add_f16_e32 v22, v14, v18
	v_add_f16_e32 v15, v15, v74
	;; [unrolled: 1-line block ×4, first 2 shown]
	v_fmac_f16_e32 v2, -0.5, v13
	v_sub_f16_e32 v13, v14, v18
	v_add_f16_e32 v14, v69, v14
	v_fmac_f16_e32 v69, -0.5, v22
	v_sub_f16_e32 v19, v19, v27
	v_pack_b32_f16 v3, v15, v3
	v_pack_b32_f16 v15, v32, v21
	;; [unrolled: 1-line block ×5, first 2 shown]
	v_add_f16_e32 v22, v26, v27
	v_fmamk_f16 v26, v13, 0xbaee, v2
	v_fmac_f16_e32 v2, 0x3aee, v13
	v_add_f16_e32 v13, v14, v18
	v_pack_b32_f16 v4, v34, v4
	v_pack_b32_f16 v5, v31, v5
	v_fmamk_f16 v14, v19, 0x3aee, v69
	v_fmac_f16_e32 v69, 0xbaee, v19
	ds_store_b32 v42, v3
	ds_store_2addr_b32 v68, v15, v17 offset0:55 offset1:66
	ds_store_2addr_b32 v68, v0, v1 offset0:110 offset1:121
	ds_store_2addr_b32 v68, v4, v5 offset0:11 offset1:22
	v_pack_b32_f16 v0, v23, v11
	v_pack_b32_f16 v1, v6, v36
	;; [unrolled: 1-line block ×8, first 2 shown]
	ds_store_2addr_b32 v99, v0, v1 offset0:55 offset1:110
	ds_store_b32 v68, v3 offset:132
	ds_store_2addr_b32 v30, v4, v5 offset0:55 offset1:110
	ds_store_b32 v68, v6 offset:176
	ds_store_2addr_b32 v16, v7, v2 offset0:55 offset1:110
	global_wb scope:SCOPE_SE
	s_wait_dscnt 0x0
	s_barrier_signal -1
	s_barrier_wait -1
	global_inv scope:SCOPE_SE
	ds_load_2addr_b32 v[0:1], v42 offset1:15
	s_wait_dscnt 0x0
	v_lshrrev_b32_e32 v4, 16, v0
	s_delay_alu instid0(VALU_DEP_1) | instskip(NEXT) | instid1(VALU_DEP_1)
	v_mul_f16_e32 v2, v67, v4
	v_fmac_f16_e32 v2, v65, v0
	v_mul_f16_e32 v0, v67, v0
	s_delay_alu instid0(VALU_DEP_2) | instskip(NEXT) | instid1(VALU_DEP_2)
	v_cvt_f32_f16_e32 v2, v2
	v_fma_f16 v0, v65, v4, -v0
	s_delay_alu instid0(VALU_DEP_2) | instskip(NEXT) | instid1(VALU_DEP_2)
	v_cvt_f64_f32_e32 v[2:3], v2
	v_cvt_f32_f16_e32 v0, v0
	s_delay_alu instid0(VALU_DEP_1) | instskip(SKIP_1) | instid1(VALU_DEP_1)
	v_cvt_f64_f32_e32 v[4:5], v0
	v_lshrrev_b32_e32 v0, 16, v1
	v_mul_f16_e32 v6, v66, v0
	s_delay_alu instid0(VALU_DEP_1) | instskip(SKIP_1) | instid1(VALU_DEP_2)
	v_fmac_f16_e32 v6, v63, v1
	v_mul_f16_e32 v1, v66, v1
	v_cvt_f32_f16_e32 v6, v6
	s_delay_alu instid0(VALU_DEP_2) | instskip(NEXT) | instid1(VALU_DEP_2)
	v_fma_f16 v0, v63, v0, -v1
	v_cvt_f64_f32_e32 v[6:7], v6
	s_wait_alu 0xfffe
	v_mul_f64_e32 v[2:3], s[8:9], v[2:3]
	v_mul_f64_e32 v[4:5], s[8:9], v[4:5]
	s_delay_alu instid0(VALU_DEP_2) | instskip(SKIP_2) | instid1(VALU_DEP_3)
	v_and_or_b32 v2, 0x1ff, v3, v2
	v_lshrrev_b32_e32 v11, 8, v3
	v_bfe_u32 v12, v3, 20, 11
	v_cmp_ne_u32_e64 s0, 0, v2
	v_and_or_b32 v4, 0x1ff, v5, v4
	v_lshrrev_b32_e32 v14, 8, v5
	v_bfe_u32 v15, v5, 20, 11
	v_add_nc_u32_e32 v18, 0xfffffc10, v12
	s_wait_alu 0xf1ff
	v_cndmask_b32_e64 v2, 0, 1, s0
	v_cmp_ne_u32_e64 s0, 0, v4
	v_lshrrev_b32_e32 v5, 16, v5
	v_add_nc_u32_e32 v22, 0xfffffc10, v15
	s_delay_alu instid0(VALU_DEP_4)
	v_and_or_b32 v17, 0xffe, v11, v2
	v_sub_nc_u32_e32 v2, 0x3f1, v12
	s_wait_alu 0xf1ff
	v_cndmask_b32_e64 v4, 0, 1, s0
	v_cmp_gt_i32_e64 s2, 1, v22
	v_or_b32_e32 v11, 0x1000, v17
	v_med3_i32 v2, v2, 0, 13
	s_delay_alu instid0(VALU_DEP_4) | instskip(SKIP_2) | instid1(VALU_DEP_4)
	v_and_or_b32 v4, 0xffe, v14, v4
	v_sub_nc_u32_e32 v14, 0x3f1, v15
	v_lshl_or_b32 v12, v18, 12, v17
	v_lshrrev_b32_e32 v13, v2, v11
	s_delay_alu instid0(VALU_DEP_4) | instskip(NEXT) | instid1(VALU_DEP_4)
	v_or_b32_e32 v16, 0x1000, v4
	v_med3_i32 v14, v14, 0, 13
	s_delay_alu instid0(VALU_DEP_3) | instskip(NEXT) | instid1(VALU_DEP_2)
	v_lshlrev_b32_e32 v2, v2, v13
	v_lshrrev_b32_e32 v19, v14, v16
	s_delay_alu instid0(VALU_DEP_2) | instskip(SKIP_3) | instid1(VALU_DEP_3)
	v_cmp_ne_u32_e64 s0, v2, v11
	v_cvt_f32_f16_e32 v11, v0
	v_mul_f64_e32 v[0:1], s[8:9], v[6:7]
	s_wait_alu 0xf1ff
	v_cndmask_b32_e64 v2, 0, 1, s0
	v_cmp_gt_i32_e64 s0, 1, v18
	v_cvt_f64_f32_e32 v[6:7], v11
	s_delay_alu instid0(VALU_DEP_3) | instskip(SKIP_1) | instid1(VALU_DEP_1)
	v_or_b32_e32 v2, v13, v2
	s_wait_alu 0xf1ff
	v_cndmask_b32_e64 v20, v12, v2, s0
	v_lshlrev_b32_e32 v2, v14, v19
	ds_load_2addr_b32 v[13:14], v42 offset0:30 offset1:45
	v_mad_co_u64_u32 v[11:12], null, s6, v10, 0
	v_and_b32_e32 v21, 7, v20
	v_cmp_ne_u32_e64 s0, v2, v16
	s_delay_alu instid0(VALU_DEP_3) | instskip(SKIP_1) | instid1(VALU_DEP_2)
	v_mov_b32_e32 v2, v12
	s_wait_alu 0xf1ff
	v_cndmask_b32_e64 v16, 0, 1, s0
	v_cmp_lt_i32_e64 s0, 5, v21
	v_cmp_eq_u32_e64 s1, 3, v21
	s_delay_alu instid0(VALU_DEP_3)
	v_or_b32_e32 v12, v19, v16
	v_mad_co_u64_u32 v[15:16], null, s7, v10, v[2:3]
	v_lshrrev_b32_e32 v2, 2, v20
	v_lshl_or_b32 v19, v22, 12, v4
	s_or_b32 s0, s1, s0
	s_wait_dscnt 0x0
	v_lshrrev_b32_e32 v20, 16, v13
	v_lshrrev_b32_e32 v3, 16, v3
	s_wait_alu 0xfffe
	v_add_co_ci_u32_e64 v2, s0, 0, v2, s0
	v_cndmask_b32_e64 v10, v19, v12, s2
	v_cmp_ne_u32_e64 s0, 0, v17
	v_mul_f16_e32 v17, v64, v20
	v_and_or_b32 v0, 0x1ff, v1, v0
	v_mul_f64_e32 v[6:7], s[8:9], v[6:7]
	v_and_b32_e32 v16, 7, v10
	s_wait_alu 0xf1ff
	v_cndmask_b32_e64 v12, 0, 1, s0
	v_cmp_gt_i32_e64 s0, 31, v18
	v_fmac_f16_e32 v17, v61, v13
	v_lshrrev_b32_e32 v10, 2, v10
	v_cmp_eq_u32_e64 s1, 3, v16
	v_lshrrev_b32_e32 v19, 8, v1
	s_wait_alu 0xf1ff
	v_cndmask_b32_e64 v2, 0x7c00, v2, s0
	v_cmp_lt_i32_e64 s0, 5, v16
	v_cvt_f32_f16_e32 v16, v17
	v_bfe_u32 v21, v1, 20, 11
	v_lshl_or_b32 v12, v12, 9, 0x7c00
	s_mul_u64 s[6:7], s[4:5], 15
	s_or_b32 s0, s1, s0
	v_cvt_f64_f32_e32 v[16:17], v16
	s_wait_alu 0xfffe
	v_add_co_ci_u32_e64 v10, s0, 0, v10, s0
	v_cmp_ne_u32_e64 s0, 0, v0
	s_lshl_b64 s[6:7], s[6:7], 2
	s_delay_alu instid0(VALU_DEP_1) | instskip(SKIP_1) | instid1(VALU_DEP_2)
	v_cndmask_b32_e64 v0, 0, 1, s0
	v_cmp_ne_u32_e64 s0, 0, v4
	v_and_or_b32 v23, 0xffe, v19, v0
	s_wait_alu 0xf1ff
	s_delay_alu instid0(VALU_DEP_2) | instskip(SKIP_3) | instid1(VALU_DEP_4)
	v_cndmask_b32_e64 v4, 0, 1, s0
	v_cmp_gt_i32_e64 s0, 31, v22
	v_sub_nc_u32_e32 v0, 0x3f1, v21
	v_or_b32_e32 v24, 0x1000, v23
	v_lshl_or_b32 v4, v4, 9, 0x7c00
	s_wait_alu 0xf1ff
	v_cndmask_b32_e64 v10, 0x7c00, v10, s0
	v_cmp_eq_u32_e64 s0, 0x40f, v18
	v_med3_i32 v0, v0, 0, 13
	v_mad_co_u64_u32 v[18:19], null, s4, v60, 0
	s_wait_alu 0xf1ff
	s_delay_alu instid0(VALU_DEP_3) | instskip(SKIP_1) | instid1(VALU_DEP_2)
	v_cndmask_b32_e64 v2, v2, v12, s0
	v_cmp_eq_u32_e64 s0, 0x40f, v22
	v_and_or_b32 v22, 0x8000, v3, v2
	s_wait_alu 0xf1ff
	s_delay_alu instid0(VALU_DEP_2)
	v_cndmask_b32_e64 v4, v10, v4, s0
	v_lshrrev_b32_e32 v10, v0, v24
	v_mov_b32_e32 v12, v15
	v_mul_f16_e32 v2, v64, v13
	v_bfe_u32 v13, v7, 20, 11
	v_and_or_b32 v25, 0x8000, v5, v4
	v_dual_mov_b32 v0, v19 :: v_dual_lshlrev_b32 v15, v0, v10
	v_and_or_b32 v5, 0x1ff, v7, v6
	v_fma_f16 v6, v61, v20, -v2
	v_add_nc_u32_e32 v20, 0xfffffc10, v21
	s_delay_alu instid0(VALU_DEP_4)
	v_cmp_ne_u32_e64 s0, v15, v24
	v_mul_f64_e32 v[15:16], s[8:9], v[16:17]
	v_and_b32_e32 v17, 0xffff, v22
	v_mad_co_u64_u32 v[2:3], null, s5, v60, v[0:1]
	s_wait_alu 0xf1ff
	v_cndmask_b32_e64 v4, 0, 1, s0
	v_cvt_f32_f16_e32 v3, v6
	v_cmp_ne_u32_e64 s0, 0, v5
	v_lshl_or_b32 v17, v25, 16, v17
	v_lshrrev_b32_e32 v1, 16, v1
	v_or_b32_e32 v0, v10, v4
	v_cvt_f64_f32_e32 v[4:5], v3
	s_wait_alu 0xf1ff
	v_cndmask_b32_e64 v6, 0, 1, s0
	v_lshrrev_b32_e32 v10, 8, v7
	v_lshl_or_b32 v3, v20, 12, v23
	v_cmp_gt_i32_e64 s0, 1, v20
	v_mov_b32_e32 v19, v2
	s_delay_alu instid0(VALU_DEP_4) | instskip(SKIP_3) | instid1(VALU_DEP_3)
	v_and_or_b32 v6, 0xffe, v10, v6
	v_sub_nc_u32_e32 v10, 0x3f1, v13
	s_wait_alu 0xf1ff
	v_cndmask_b32_e64 v0, v3, v0, s0
	v_or_b32_e32 v21, 0x1000, v6
	s_delay_alu instid0(VALU_DEP_3) | instskip(SKIP_1) | instid1(VALU_DEP_4)
	v_med3_i32 v22, v10, 0, 13
	v_lshlrev_b64_e32 v[10:11], 2, v[11:12]
	v_and_b32_e32 v12, 7, v0
	v_lshrrev_b32_e32 v0, 2, v0
	s_delay_alu instid0(VALU_DEP_4) | instskip(NEXT) | instid1(VALU_DEP_4)
	v_lshrrev_b32_e32 v24, v22, v21
	v_add_co_u32 v2, s0, s10, v10
	s_wait_alu 0xf1ff
	v_add_co_ci_u32_e64 v3, s0, s11, v11, s0
	s_delay_alu instid0(VALU_DEP_3)
	v_lshlrev_b32_e32 v22, v22, v24
	v_cmp_lt_i32_e64 s0, 5, v12
	v_cmp_eq_u32_e64 s1, 3, v12
	v_lshlrev_b64_e32 v[10:11], 2, v[18:19]
	v_lshrrev_b32_e32 v19, 16, v14
	v_cmp_ne_u32_e64 s2, v22, v21
	v_add_nc_u32_e32 v18, 0xfffffc10, v13
	s_or_b32 s0, s1, s0
	v_bfe_u32 v25, v16, 20, 11
	s_wait_alu 0xfffe
	v_add_co_ci_u32_e64 v0, s0, 0, v0, s0
	v_cndmask_b32_e64 v12, 0, 1, s2
	v_cmp_ne_u32_e64 s0, 0, v23
	v_mul_f16_e32 v22, v62, v19
	v_lshl_or_b32 v13, v18, 12, v6
	v_mul_f64_e32 v[4:5], s[8:9], v[4:5]
	v_or_b32_e32 v12, v24, v12
	s_wait_alu 0xf1ff
	v_cndmask_b32_e64 v21, 0, 1, s0
	v_cmp_gt_i32_e64 s0, 1, v18
	v_fmac_f16_e32 v22, v58, v14
	v_cmp_eq_u32_e64 s2, 0x40f, v20
	v_lshrrev_b32_e32 v24, 8, v16
	v_mul_f16_e32 v14, v62, v14
	s_wait_alu 0xf1ff
	v_cndmask_b32_e64 v23, v13, v12, s0
	v_and_or_b32 v12, 0x1ff, v16, v15
	v_cmp_gt_i32_e64 s0, 31, v20
	v_cvt_f32_f16_e32 v13, v22
	v_lshl_or_b32 v15, v21, 9, 0x7c00
	v_and_b32_e32 v21, 7, v23
	v_lshrrev_b32_e32 v16, 16, v16
	s_wait_alu 0xf1ff
	v_cndmask_b32_e64 v0, 0x7c00, v0, s0
	v_cmp_ne_u32_e64 s0, 0, v12
	v_cvt_f64_f32_e32 v[12:13], v13
	v_cmp_eq_u32_e64 s1, 3, v21
	s_delay_alu instid0(VALU_DEP_4) | instskip(SKIP_4) | instid1(VALU_DEP_3)
	v_cndmask_b32_e64 v0, v0, v15, s2
	s_wait_alu 0xf1ff
	v_cndmask_b32_e64 v22, 0, 1, s0
	v_cmp_lt_i32_e64 s0, 5, v21
	v_lshrrev_b32_e32 v15, 2, v23
	v_and_or_b32 v21, 0xffe, v24, v22
	v_sub_nc_u32_e32 v22, 0x3f1, v25
	s_delay_alu instid0(VALU_DEP_4)
	s_or_b32 s0, s1, s0
	v_and_or_b32 v24, 0x8000, v1, v0
	s_wait_alu 0xfffe
	v_add_co_ci_u32_e64 v15, s0, 0, v15, s0
	v_or_b32_e32 v20, 0x1000, v21
	v_med3_i32 v22, v22, 0, 13
	v_cmp_ne_u32_e64 s0, 0, v6
	v_fma_f16 v1, v58, v19, -v14
	v_and_b32_e32 v24, 0xffff, v24
	s_delay_alu instid0(VALU_DEP_4)
	v_lshrrev_b32_e32 v23, v22, v20
	s_wait_alu 0xf1ff
	v_cndmask_b32_e64 v6, 0, 1, s0
	v_cmp_gt_i32_e64 s0, 31, v18
	v_and_or_b32 v4, 0x1ff, v5, v4
	v_lshrrev_b32_e32 v14, 8, v5
	v_lshlrev_b32_e32 v0, v22, v23
	v_lshl_or_b32 v6, v6, 9, 0x7c00
	s_wait_alu 0xf1ff
	v_cndmask_b32_e64 v15, 0x7c00, v15, s0
	v_cmp_eq_u32_e64 s0, 0x40f, v18
	v_bfe_u32 v19, v5, 20, 11
	v_add_nc_u32_e32 v18, 0xfffffc10, v25
	v_lshrrev_b32_e32 v22, 16, v7
	s_wait_alu 0xf1ff
	v_cndmask_b32_e64 v15, v15, v6, s0
	v_cmp_ne_u32_e64 s0, v0, v20
	v_cvt_f32_f16_e32 v0, v1
	v_lshl_or_b32 v20, v18, 12, v21
	v_mul_f64_e32 v[12:13], s[8:9], v[12:13]
	v_and_or_b32 v15, 0x8000, v22, v15
	s_wait_alu 0xf1ff
	v_cndmask_b32_e64 v6, 0, 1, s0
	v_cmp_ne_u32_e64 s0, 0, v4
	v_cvt_f64_f32_e32 v[0:1], v0
	v_lshl_or_b32 v24, v15, 16, v24
	s_delay_alu instid0(VALU_DEP_4) | instskip(SKIP_3) | instid1(VALU_DEP_2)
	v_or_b32_e32 v6, v23, v6
	s_wait_alu 0xf1ff
	v_cndmask_b32_e64 v4, 0, 1, s0
	v_cmp_gt_i32_e64 s0, 1, v18
	v_and_or_b32 v4, 0xffe, v14, v4
	v_sub_nc_u32_e32 v14, 0x3f1, v19
	s_wait_alu 0xf1ff
	s_delay_alu instid0(VALU_DEP_3)
	v_cndmask_b32_e64 v20, v20, v6, s0
	ds_load_2addr_b32 v[6:7], v42 offset0:60 offset1:75
	v_add_co_u32 v10, s0, v2, v10
	v_or_b32_e32 v23, 0x1000, v4
	v_med3_i32 v14, v14, 0, 13
	v_and_b32_e32 v25, 7, v20
	s_wait_alu 0xf1ff
	v_add_co_ci_u32_e64 v11, s0, v3, v11, s0
	v_lshrrev_b32_e32 v15, 2, v20
	v_lshrrev_b32_e32 v22, v14, v23
	v_cmp_lt_i32_e64 s0, 5, v25
	v_cmp_eq_u32_e64 s1, 3, v25
	global_store_b32 v[10:11], v17, off
	v_add_nc_u32_e32 v17, 0xfffffc10, v19
	v_lshlrev_b32_e32 v14, v14, v22
	s_or_b32 s0, s1, s0
	s_wait_alu 0xfffe
	v_add_co_ci_u32_e64 v15, s0, 0, v15, s0
	s_delay_alu instid0(VALU_DEP_2)
	v_cmp_ne_u32_e64 s2, v14, v23
	v_cmp_ne_u32_e64 s0, 0, v21
	s_wait_dscnt 0x0
	v_lshrrev_b32_e32 v19, 16, v6
	v_lshl_or_b32 v20, v17, 12, v4
	v_and_or_b32 v12, 0x1ff, v13, v12
	s_wait_alu 0xf1ff
	v_cndmask_b32_e64 v14, 0, 1, s2
	v_cndmask_b32_e64 v21, 0, 1, s0
	v_cmp_gt_i32_e64 s0, 1, v17
	v_mul_f64_e32 v[0:1], s[8:9], v[0:1]
	v_bfe_u32 v25, v13, 20, 11
	v_or_b32_e32 v14, v22, v14
	v_mul_f16_e32 v22, v59, v19
	v_lshl_or_b32 v21, v21, 9, 0x7c00
	v_cmp_eq_u32_e64 s2, 0x40f, v18
	s_wait_alu 0xf1ff
	v_cndmask_b32_e64 v20, v20, v14, s0
	v_cmp_gt_i32_e64 s0, 31, v18
	v_fmac_f16_e32 v22, v56, v6
	s_delay_alu instid0(VALU_DEP_3) | instskip(SKIP_1) | instid1(VALU_DEP_3)
	v_and_b32_e32 v14, 7, v20
	s_wait_alu 0xf1ff
	v_cndmask_b32_e64 v23, 0x7c00, v15, s0
	v_cmp_ne_u32_e64 s0, 0, v12
	v_cvt_f32_f16_e32 v15, v22
	v_lshrrev_b32_e32 v22, 8, v13
	v_cmp_eq_u32_e64 s1, 3, v14
	v_lshrrev_b32_e32 v20, 2, v20
	s_wait_alu 0xf1ff
	v_cndmask_b32_e64 v12, 0, 1, s0
	v_cmp_lt_i32_e64 s0, 5, v14
	v_cvt_f64_f32_e32 v[14:15], v15
	v_cndmask_b32_e64 v18, v23, v21, s2
	v_lshrrev_b32_e32 v13, 16, v13
	v_and_or_b32 v12, 0xffe, v22, v12
	v_sub_nc_u32_e32 v22, 0x3f1, v25
	s_or_b32 s0, s1, s0
	v_and_or_b32 v16, 0x8000, v16, v18
	s_wait_alu 0xfffe
	v_add_co_ci_u32_e64 v20, s0, 0, v20, s0
	v_or_b32_e32 v21, 0x1000, v12
	v_med3_i32 v22, v22, 0, 13
	v_cmp_ne_u32_e64 s0, 0, v4
	v_and_b32_e32 v16, 0xffff, v16
	s_delay_alu instid0(VALU_DEP_3) | instskip(SKIP_1) | instid1(VALU_DEP_3)
	v_lshrrev_b32_e32 v23, v22, v21
	s_wait_alu 0xf1ff
	v_cndmask_b32_e64 v4, 0, 1, s0
	v_cmp_gt_i32_e64 s0, 31, v17
	v_and_or_b32 v0, 0x1ff, v1, v0
	v_lshlrev_b32_e32 v18, v22, v23
	s_delay_alu instid0(VALU_DEP_4) | instskip(SKIP_4) | instid1(VALU_DEP_1)
	v_lshl_or_b32 v4, v4, 9, 0x7c00
	s_wait_alu 0xf1ff
	v_cndmask_b32_e64 v20, 0x7c00, v20, s0
	v_cmp_eq_u32_e64 s0, 0x40f, v17
	s_wait_alu 0xf1ff
	v_cndmask_b32_e64 v17, v20, v4, s0
	v_mul_f16_e32 v4, v59, v6
	v_cmp_ne_u32_e64 s0, v18, v21
	v_lshrrev_b32_e32 v20, 16, v5
	v_lshrrev_b32_e32 v6, 8, v1
	v_bfe_u32 v18, v1, 20, 11
	v_fma_f16 v4, v56, v19, -v4
	s_wait_alu 0xf1ff
	v_cndmask_b32_e64 v5, 0, 1, s0
	v_cmp_ne_u32_e64 s0, 0, v0
	v_add_nc_u32_e32 v21, 0xfffffc10, v25
	v_and_or_b32 v17, 0x8000, v20, v17
	v_cvt_f32_f16_e32 v22, v4
	v_or_b32_e32 v19, v23, v5
	s_wait_alu 0xf1ff
	v_cndmask_b32_e64 v0, 0, 1, s0
	v_mul_f64_e32 v[4:5], s[8:9], v[14:15]
	v_lshl_or_b32 v23, v21, 12, v12
	v_cvt_f64_f32_e32 v[14:15], v22
	v_cmp_gt_i32_e64 s0, 1, v21
	v_and_or_b32 v0, 0xffe, v6, v0
	v_sub_nc_u32_e32 v6, 0x3f1, v18
	s_wait_alu 0xf1ff
	s_delay_alu instid0(VALU_DEP_3) | instskip(NEXT) | instid1(VALU_DEP_3)
	v_cndmask_b32_e64 v19, v23, v19, s0
	v_or_b32_e32 v22, 0x1000, v0
	s_delay_alu instid0(VALU_DEP_3) | instskip(SKIP_3) | instid1(VALU_DEP_3)
	v_med3_i32 v6, v6, 0, 13
	v_add_co_u32 v10, s0, v10, s6
	s_wait_alu 0xf1ff
	v_add_co_ci_u32_e64 v11, s0, s7, v11, s0
	v_lshrrev_b32_e32 v20, v6, v22
	v_and_b32_e32 v25, 7, v19
	v_lshl_or_b32 v23, v17, 16, v16
	v_add_co_u32 v16, s0, v10, s6
	s_delay_alu instid0(VALU_DEP_4)
	v_lshlrev_b32_e32 v6, v6, v20
	s_wait_alu 0xf1ff
	v_add_co_ci_u32_e64 v17, s0, s7, v11, s0
	v_cmp_lt_i32_e64 s0, 5, v25
	v_cmp_eq_u32_e64 s1, 3, v25
	v_lshrrev_b32_e32 v19, 2, v19
	v_cmp_ne_u32_e64 s2, v6, v22
	v_add_nc_u32_e32 v22, 0xfffffc10, v18
	v_lshrrev_b32_e32 v25, 16, v7
	s_or_b32 s0, s1, s0
	s_wait_alu 0xfffe
	v_add_co_ci_u32_e64 v18, s0, 0, v19, s0
	v_cndmask_b32_e64 v6, 0, 1, s2
	v_cmp_ne_u32_e64 s0, 0, v12
	v_lshl_or_b32 v19, v22, 12, v0
	s_delay_alu instid0(VALU_DEP_3)
	v_or_b32_e32 v6, v20, v6
	v_mul_f16_e32 v20, v57, v25
	s_wait_alu 0xf1ff
	v_cndmask_b32_e64 v12, 0, 1, s0
	v_cmp_gt_i32_e64 s0, 1, v22
	v_and_or_b32 v4, 0x1ff, v5, v4
	v_mul_f64_e32 v[14:15], s[8:9], v[14:15]
	v_fmac_f16_e32 v20, v55, v7
	v_lshl_or_b32 v12, v12, 9, 0x7c00
	s_wait_alu 0xf1ff
	v_cndmask_b32_e64 v6, v19, v6, s0
	v_cmp_gt_i32_e64 s0, 31, v21
	v_lshrrev_b32_e32 v27, 8, v5
	v_bfe_u32 v28, v5, 20, 11
	v_mul_f16_e32 v7, v57, v7
	s_wait_alu 0xf1ff
	v_cndmask_b32_e64 v26, 0x7c00, v18, s0
	v_cvt_f32_f16_e32 v18, v20
	v_cmp_ne_u32_e64 s0, 0, v4
	v_and_b32_e32 v20, 7, v6
	v_lshrrev_b32_e32 v6, 2, v6
	v_fma_f16 v7, v55, v25, -v7
	v_cvt_f64_f32_e32 v[18:19], v18
	s_wait_alu 0xf1ff
	v_cndmask_b32_e64 v4, 0, 1, s0
	v_cmp_eq_u32_e64 s0, 0x40f, v21
	v_cmp_eq_u32_e64 s1, 3, v20
	v_sub_nc_u32_e32 v21, 0x3f1, v28
	v_cvt_f32_f16_e32 v7, v7
	v_and_or_b32 v4, 0xffe, v27, v4
	s_wait_alu 0xf1ff
	v_cndmask_b32_e64 v12, v26, v12, s0
	v_cmp_lt_i32_e64 s0, 5, v20
	v_med3_i32 v21, v21, 0, 13
	v_or_b32_e32 v20, 0x1000, v4
	s_delay_alu instid0(VALU_DEP_4) | instskip(NEXT) | instid1(VALU_DEP_4)
	v_and_or_b32 v27, 0x8000, v13, v12
	s_or_b32 s0, s1, s0
	s_wait_alu 0xfffe
	v_add_co_ci_u32_e64 v6, s0, 0, v6, s0
	v_cmp_ne_u32_e64 s0, 0, v0
	v_lshrrev_b32_e32 v25, v21, v20
	s_wait_alu 0xf1ff
	s_delay_alu instid0(VALU_DEP_2) | instskip(SKIP_1) | instid1(VALU_DEP_3)
	v_cndmask_b32_e64 v0, 0, 1, s0
	v_cmp_gt_i32_e64 s0, 31, v22
	v_lshlrev_b32_e32 v12, v21, v25
	v_bfe_u32 v29, v15, 20, 11
	s_delay_alu instid0(VALU_DEP_4)
	v_lshl_or_b32 v0, v0, 9, 0x7c00
	s_wait_alu 0xf1ff
	v_cndmask_b32_e64 v26, 0x7c00, v6, s0
	v_cvt_f64_f32_e32 v[6:7], v7
	v_cmp_eq_u32_e64 s0, 0x40f, v22
	v_add_nc_u32_e32 v22, 0xfffffc10, v28
	v_lshrrev_b32_e32 v28, 8, v15
	s_wait_alu 0xf1ff
	s_delay_alu instid0(VALU_DEP_3)
	v_cndmask_b32_e64 v21, v26, v0, s0
	v_and_or_b32 v0, 0x1ff, v15, v14
	v_cmp_ne_u32_e64 s0, v12, v20
	v_lshrrev_b32_e32 v14, 16, v1
	ds_load_2addr_b32 v[12:13], v42 offset0:90 offset1:105
	s_clause 0x1
	global_store_b32 v[10:11], v24, off
	global_store_b32 v[16:17], v23, off
	v_lshrrev_b32_e32 v15, 16, v15
	s_wait_alu 0xf1ff
	v_cndmask_b32_e64 v20, 0, 1, s0
	v_cmp_ne_u32_e64 s0, 0, v0
	v_mul_f64_e32 v[0:1], s[8:9], v[18:19]
	v_and_or_b32 v14, 0x8000, v14, v21
	v_lshl_or_b32 v19, v22, 12, v4
	v_or_b32_e32 v18, v25, v20
	s_wait_alu 0xf1ff
	v_cndmask_b32_e64 v26, 0, 1, s0
	v_sub_nc_u32_e32 v21, 0x3f1, v29
	v_cmp_gt_i32_e64 s0, 1, v22
	v_and_b32_e32 v25, 0xffff, v27
	s_delay_alu instid0(VALU_DEP_4) | instskip(NEXT) | instid1(VALU_DEP_4)
	v_and_or_b32 v20, 0xffe, v28, v26
	v_med3_i32 v21, v21, 0, 13
	s_wait_alu 0xf1ff
	v_cndmask_b32_e64 v18, v19, v18, s0
	v_add_co_u32 v10, s0, v16, s6
	v_or_b32_e32 v19, 0x1000, v20
	s_wait_alu 0xf1ff
	v_add_co_ci_u32_e64 v11, s0, s7, v17, s0
	v_and_b32_e32 v23, 7, v18
	v_lshl_or_b32 v14, v14, 16, v25
	v_lshrrev_b32_e32 v24, v21, v19
	s_wait_dscnt 0x0
	v_lshrrev_b32_e32 v25, 16, v12
	v_lshrrev_b32_e32 v18, 2, v18
	v_cmp_lt_i32_e64 s0, 5, v23
	v_cmp_eq_u32_e64 s1, 3, v23
	v_lshlrev_b32_e32 v16, v21, v24
	v_mul_f64_e32 v[6:7], s[8:9], v[6:7]
	v_mul_f16_e32 v17, v54, v25
	global_store_b32 v[10:11], v14, off
	s_or_b32 s0, s1, s0
	v_cmp_ne_u32_e64 s2, v16, v19
	s_wait_alu 0xfffe
	v_add_co_ci_u32_e64 v18, s0, 0, v18, s0
	v_add_nc_u32_e32 v19, 0xfffffc10, v29
	v_cmp_ne_u32_e64 s0, 0, v4
	s_wait_alu 0xf1ff
	v_cndmask_b32_e64 v16, 0, 1, s2
	v_fmac_f16_e32 v17, v53, v12
	v_mul_f16_e32 v12, v54, v12
	v_lshl_or_b32 v23, v19, 12, v20
	v_and_or_b32 v0, 0x1ff, v1, v0
	v_or_b32_e32 v21, v24, v16
	v_cndmask_b32_e64 v4, 0, 1, s0
	v_cmp_gt_i32_e64 s0, 1, v19
	v_cvt_f32_f16_e32 v16, v17
	v_bfe_u32 v24, v1, 20, 11
	v_fma_f16 v12, v53, v25, -v12
	v_lshl_or_b32 v4, v4, 9, 0x7c00
	s_wait_alu 0xf1ff
	v_cndmask_b32_e64 v21, v23, v21, s0
	v_cmp_ne_u32_e64 s0, 0, v0
	v_cvt_f64_f32_e32 v[16:17], v16
	v_lshrrev_b32_e32 v23, 8, v1
	v_cvt_f32_f16_e32 v12, v12
	v_and_b32_e32 v26, 7, v21
	s_wait_alu 0xf1ff
	v_cndmask_b32_e64 v0, 0, 1, s0
	v_cmp_gt_i32_e64 s0, 31, v22
	v_lshrrev_b32_e32 v1, 16, v1
	v_cmp_eq_u32_e64 s1, 3, v26
	s_delay_alu instid0(VALU_DEP_4)
	v_and_or_b32 v0, 0xffe, v23, v0
	s_wait_alu 0xf1ff
	v_cndmask_b32_e64 v18, 0x7c00, v18, s0
	v_sub_nc_u32_e32 v23, 0x3f1, v24
	v_cmp_eq_u32_e64 s0, 0x40f, v22
	v_add_nc_u32_e32 v24, 0xfffffc10, v24
	v_and_or_b32 v6, 0x1ff, v7, v6
	s_delay_alu instid0(VALU_DEP_4)
	v_med3_i32 v22, v23, 0, 13
	s_wait_alu 0xf1ff
	v_cndmask_b32_e64 v18, v18, v4, s0
	v_or_b32_e32 v4, 0x1000, v0
	v_cmp_lt_i32_e64 s0, 5, v26
	v_lshrrev_b32_e32 v23, 16, v5
	v_lshrrev_b32_e32 v5, 2, v21
	v_bfe_u32 v25, v7, 20, 11
	v_lshrrev_b32_e32 v21, v22, v4
	s_or_b32 s0, s1, s0
	v_and_or_b32 v14, 0x8000, v23, v18
	s_wait_alu 0xfffe
	v_add_co_ci_u32_e64 v26, s0, 0, v5, s0
	v_lshlrev_b32_e32 v5, v22, v21
	v_cmp_ne_u32_e64 s0, 0, v6
	v_lshrrev_b32_e32 v22, 8, v7
	s_wait_alu 0xf1ff
	s_delay_alu instid0(VALU_DEP_2) | instskip(SKIP_2) | instid1(VALU_DEP_3)
	v_cndmask_b32_e64 v6, 0, 1, s0
	v_cmp_ne_u32_e64 s0, v5, v4
	v_mul_f64_e32 v[4:5], s[8:9], v[16:17]
	v_and_or_b32 v6, 0xffe, v22, v6
	s_wait_alu 0xf1ff
	s_delay_alu instid0(VALU_DEP_3) | instskip(SKIP_3) | instid1(VALU_DEP_4)
	v_cndmask_b32_e64 v27, 0, 1, s0
	v_cmp_ne_u32_e64 s0, 0, v20
	v_sub_nc_u32_e32 v22, 0x3f1, v25
	v_cvt_f64_f32_e32 v[16:17], v12
	v_or_b32_e32 v20, v21, v27
	s_wait_alu 0xf1ff
	v_cndmask_b32_e64 v12, 0, 1, s0
	v_cmp_gt_i32_e64 s0, 31, v19
	v_lshl_or_b32 v21, v24, 12, v0
	v_or_b32_e32 v27, 0x1000, v6
	v_med3_i32 v22, v22, 0, 13
	v_lshl_or_b32 v12, v12, 9, 0x7c00
	s_wait_alu 0xf1ff
	v_cndmask_b32_e64 v26, 0x7c00, v26, s0
	v_cmp_gt_i32_e64 s0, 1, v24
	s_wait_alu 0xf1ff
	s_delay_alu instid0(VALU_DEP_1) | instskip(SKIP_2) | instid1(VALU_DEP_3)
	v_cndmask_b32_e64 v20, v21, v20, s0
	v_lshrrev_b32_e32 v21, v22, v27
	v_cmp_eq_u32_e64 s0, 0x40f, v19
	v_and_b32_e32 v19, 7, v20
	s_delay_alu instid0(VALU_DEP_3) | instskip(SKIP_1) | instid1(VALU_DEP_3)
	v_lshlrev_b32_e32 v22, v22, v21
	s_wait_alu 0xf1ff
	v_cndmask_b32_e64 v12, v26, v12, s0
	s_delay_alu instid0(VALU_DEP_3) | instskip(NEXT) | instid1(VALU_DEP_3)
	v_cmp_lt_i32_e64 s0, 5, v19
	v_cmp_ne_u32_e64 s1, v22, v27
	s_delay_alu instid0(VALU_DEP_3) | instskip(SKIP_2) | instid1(VALU_DEP_3)
	v_and_or_b32 v18, 0x8000, v15, v12
	v_add_nc_u32_e32 v22, 0xfffffc10, v25
	s_wait_alu 0xf1ff
	v_cndmask_b32_e64 v12, 0, 1, s1
	v_cmp_eq_u32_e64 s1, 3, v19
	v_and_b32_e32 v19, 0xffff, v14
	v_lshrrev_b32_e32 v14, 2, v20
	v_lshl_or_b32 v15, v22, 12, v6
	v_or_b32_e32 v12, v21, v12
	s_or_b32 s0, s1, s0
	v_lshrrev_b32_e32 v21, 16, v13
	s_wait_alu 0xfffe
	v_add_co_ci_u32_e64 v20, s0, 0, v14, s0
	v_cmp_ne_u32_e64 s0, 0, v0
	v_and_or_b32 v4, 0x1ff, v5, v4
	v_lshrrev_b32_e32 v23, 8, v5
	v_bfe_u32 v25, v5, 20, 11
	v_lshrrev_b32_e32 v5, 16, v5
	s_wait_alu 0xf1ff
	v_cndmask_b32_e64 v0, 0, 1, s0
	v_cmp_gt_i32_e64 s0, 1, v22
	s_delay_alu instid0(VALU_DEP_2) | instskip(SKIP_1) | instid1(VALU_DEP_2)
	v_lshl_or_b32 v0, v0, 9, 0x7c00
	s_wait_alu 0xf1ff
	v_cndmask_b32_e64 v12, v15, v12, s0
	v_cmp_gt_i32_e64 s0, 31, v24
	v_mul_f64_e32 v[14:15], s[8:9], v[16:17]
	v_mul_f16_e32 v17, v52, v21
	s_wait_alu 0xf1ff
	s_delay_alu instid0(VALU_DEP_3) | instskip(SKIP_1) | instid1(VALU_DEP_3)
	v_cndmask_b32_e64 v16, 0x7c00, v20, s0
	v_cmp_ne_u32_e64 s0, 0, v4
	v_fmac_f16_e32 v17, v51, v13
	v_and_b32_e32 v20, 7, v12
	v_lshrrev_b32_e32 v12, 2, v12
	s_wait_alu 0xf1ff
	v_cndmask_b32_e64 v4, 0, 1, s0
	v_cmp_eq_u32_e64 s0, 0x40f, v24
	v_cmp_eq_u32_e64 s1, 3, v20
	s_delay_alu instid0(VALU_DEP_3) | instskip(SKIP_1) | instid1(VALU_DEP_3)
	v_and_or_b32 v4, 0xffe, v23, v4
	s_wait_alu 0xf1ff
	v_cndmask_b32_e64 v0, v16, v0, s0
	v_cvt_f32_f16_e32 v16, v17
	v_cmp_lt_i32_e64 s0, 5, v20
	v_sub_nc_u32_e32 v23, 0x3f1, v25
	v_or_b32_e32 v20, 0x1000, v4
	v_and_or_b32 v26, 0x8000, v1, v0
	v_cvt_f64_f32_e32 v[16:17], v16
	s_or_b32 s0, s1, s0
	v_med3_i32 v23, v23, 0, 13
	s_wait_alu 0xfffe
	v_add_co_ci_u32_e64 v12, s0, 0, v12, s0
	v_cmp_ne_u32_e64 s0, 0, v6
	v_mul_f16_e32 v0, v52, v13
	v_lshrrev_b32_e32 v24, v23, v20
	s_wait_alu 0xf1ff
	s_delay_alu instid0(VALU_DEP_3) | instskip(SKIP_1) | instid1(VALU_DEP_3)
	v_cndmask_b32_e64 v6, 0, 1, s0
	v_cmp_gt_i32_e64 s0, 31, v22
	v_lshlrev_b32_e32 v1, v23, v24
	v_fma_f16 v0, v51, v21, -v0
	v_lshrrev_b32_e32 v23, 16, v7
	v_lshl_or_b32 v6, v6, 9, 0x7c00
	s_wait_alu 0xf1ff
	v_cndmask_b32_e64 v12, 0x7c00, v12, s0
	v_cmp_eq_u32_e64 s0, 0x40f, v22
	v_cvt_f32_f16_e32 v0, v0
	s_wait_alu 0xf1ff
	s_delay_alu instid0(VALU_DEP_2)
	v_cndmask_b32_e64 v22, v12, v6, s0
	v_and_or_b32 v6, 0x1ff, v15, v14
	v_cmp_ne_u32_e64 s0, v1, v20
	v_add_nc_u32_e32 v14, 0xfffffc10, v25
	v_cvt_f64_f32_e32 v[0:1], v0
	v_lshrrev_b32_e32 v12, 8, v15
	v_bfe_u32 v20, v15, 20, 11
	s_wait_alu 0xf1ff
	v_cndmask_b32_e64 v7, 0, 1, s0
	v_cmp_ne_u32_e64 s0, 0, v6
	v_lshl_or_b32 v21, v14, 12, v4
	v_sub_nc_u32_e32 v25, 0x3f1, v20
	s_delay_alu instid0(VALU_DEP_4) | instskip(SKIP_4) | instid1(VALU_DEP_3)
	v_or_b32_e32 v13, v24, v7
	s_wait_alu 0xf1ff
	v_cndmask_b32_e64 v6, 0, 1, s0
	v_cmp_gt_i32_e64 s0, 1, v14
	v_add_nc_u32_e32 v20, 0xfffffc10, v20
	v_and_or_b32 v24, 0xffe, v12, v6
	ds_load_2addr_b32 v[6:7], v42 offset0:120 offset1:135
	s_wait_alu 0xf1ff
	v_cndmask_b32_e64 v21, v21, v13, s0
	v_mul_f64_e32 v[12:13], s[8:9], v[16:17]
	v_med3_i32 v17, v25, 0, 13
	v_or_b32_e32 v16, 0x1000, v24
	v_lshl_or_b32 v25, v18, 16, v19
	v_and_or_b32 v18, 0x8000, v23, v22
	v_and_b32_e32 v22, 7, v21
	v_and_b32_e32 v19, 0xffff, v26
	v_lshrrev_b32_e32 v23, v17, v16
	v_add_co_u32 v10, s0, v10, s6
	s_wait_alu 0xf1ff
	v_add_co_ci_u32_e64 v11, s0, s7, v11, s0
	s_delay_alu instid0(VALU_DEP_3)
	v_lshlrev_b32_e32 v17, v17, v23
	v_cmp_lt_i32_e64 s0, 5, v22
	v_cmp_eq_u32_e64 s1, 3, v22
	v_lshl_or_b32 v26, v18, 16, v19
	v_lshrrev_b32_e32 v18, 2, v21
	v_cmp_ne_u32_e64 s2, v17, v16
	s_wait_dscnt 0x0
	v_lshrrev_b32_e32 v22, 16, v6
	s_or_b32 s0, s1, s0
	v_lshl_or_b32 v19, v20, 12, v24
	s_wait_alu 0xfffe
	v_add_co_ci_u32_e64 v18, s0, 0, v18, s0
	v_cndmask_b32_e64 v16, 0, 1, s2
	v_mul_f16_e32 v17, v50, v22
	v_cmp_ne_u32_e64 s0, 0, v4
	v_mul_f64_e32 v[0:1], s[8:9], v[0:1]
	s_delay_alu instid0(VALU_DEP_4) | instskip(NEXT) | instid1(VALU_DEP_4)
	v_or_b32_e32 v16, v23, v16
	v_fmac_f16_e32 v17, v49, v6
	s_wait_alu 0xf1ff
	v_cndmask_b32_e64 v4, 0, 1, s0
	v_cmp_gt_i32_e64 s0, 1, v20
	v_mul_f16_e32 v6, v50, v6
	s_delay_alu instid0(VALU_DEP_3) | instskip(SKIP_1) | instid1(VALU_DEP_3)
	v_lshl_or_b32 v4, v4, 9, 0x7c00
	s_wait_alu 0xf1ff
	v_cndmask_b32_e64 v21, v19, v16, s0
	v_cvt_f32_f16_e32 v16, v17
	v_cmp_gt_i32_e64 s0, 31, v14
	v_and_or_b32 v12, 0x1ff, v13, v12
	v_fma_f16 v6, v49, v22, -v6
	v_and_b32_e32 v27, 7, v21
	v_cvt_f64_f32_e32 v[16:17], v16
	s_wait_alu 0xf1ff
	v_cndmask_b32_e64 v23, 0x7c00, v18, s0
	v_add_co_u32 v18, s0, v10, s6
	s_wait_alu 0xf1ff
	v_add_co_ci_u32_e64 v19, s0, s7, v11, s0
	v_cmp_eq_u32_e64 s0, 0x40f, v14
	v_cmp_ne_u32_e64 s1, 0, v12
	v_lshrrev_b32_e32 v21, 2, v21
	v_lshrrev_b32_e32 v14, 8, v13
	v_cvt_f32_f16_e32 v6, v6
	s_wait_alu 0xf1ff
	v_cndmask_b32_e64 v4, v23, v4, s0
	v_cmp_lt_i32_e64 s0, 5, v27
	v_cndmask_b32_e64 v12, 0, 1, s1
	v_cmp_eq_u32_e64 s1, 3, v27
	v_bfe_u32 v23, v13, 20, 11
	v_and_or_b32 v28, 0x8000, v5, v4
	global_store_b32 v[10:11], v25, off
	global_store_b32 v[18:19], v26, off
	v_and_or_b32 v12, 0xffe, v14, v12
	s_or_b32 s0, s1, s0
	v_sub_nc_u32_e32 v14, 0x3f1, v23
	s_wait_alu 0xfffe
	v_add_co_ci_u32_e64 v21, s0, 0, v21, s0
	v_cmp_ne_u32_e64 s0, 0, v24
	v_or_b32_e32 v27, 0x1000, v12
	v_med3_i32 v14, v14, 0, 13
	v_and_or_b32 v0, 0x1ff, v1, v0
	v_add_nc_u32_e32 v22, 0xfffffc10, v23
	s_wait_alu 0xf1ff
	v_cndmask_b32_e64 v24, 0, 1, s0
	v_cmp_gt_i32_e64 s0, 31, v20
	v_lshrrev_b32_e32 v29, v14, v27
	v_lshrrev_b32_e32 v13, 16, v13
	v_cmp_eq_u32_e64 s2, 0x40f, v22
	v_lshl_or_b32 v24, v24, 9, 0x7c00
	s_wait_alu 0xf1ff
	v_cndmask_b32_e64 v21, 0x7c00, v21, s0
	v_cmp_eq_u32_e64 s0, 0x40f, v20
	v_lshlrev_b32_e32 v14, v14, v29
	v_mul_f64_e32 v[4:5], s[8:9], v[16:17]
	v_lshl_or_b32 v17, v22, 12, v12
	s_wait_alu 0xf1ff
	v_cndmask_b32_e64 v20, v21, v24, s0
	v_cmp_ne_u32_e64 s0, 0, v0
	v_lshrrev_b32_e32 v21, 16, v15
	v_lshrrev_b32_e32 v15, 8, v1
	v_bfe_u32 v24, v1, 20, 11
	v_lshrrev_b32_e32 v1, 16, v1
	s_wait_alu 0xf1ff
	v_cndmask_b32_e64 v0, 0, 1, s0
	v_cmp_ne_u32_e64 s0, v14, v27
	s_delay_alu instid0(VALU_DEP_2) | instskip(SKIP_1) | instid1(VALU_DEP_2)
	v_and_or_b32 v0, 0xffe, v15, v0
	s_wait_alu 0xf1ff
	v_cndmask_b32_e64 v14, 0, 1, s0
	v_sub_nc_u32_e32 v15, 0x3f1, v24
	v_cmp_gt_i32_e64 s0, 1, v22
	v_or_b32_e32 v23, 0x1000, v0
	s_delay_alu instid0(VALU_DEP_4) | instskip(NEXT) | instid1(VALU_DEP_4)
	v_or_b32_e32 v16, v29, v14
	v_med3_i32 v27, v15, 0, 13
	v_cvt_f64_f32_e32 v[14:15], v6
	v_and_or_b32 v6, 0x8000, v21, v20
	v_and_b32_e32 v20, 0xffff, v28
	s_wait_alu 0xf1ff
	v_cndmask_b32_e64 v16, v17, v16, s0
	v_lshrrev_b32_e32 v17, v27, v23
	v_add_co_u32 v10, s0, v18, s6
	v_lshl_or_b32 v20, v6, 16, v20
	s_delay_alu instid0(VALU_DEP_4) | instskip(NEXT) | instid1(VALU_DEP_4)
	v_and_b32_e32 v6, 7, v16
	v_lshlrev_b32_e32 v21, v27, v17
	v_lshrrev_b32_e32 v18, 16, v7
	s_wait_alu 0xf1ff
	v_add_co_ci_u32_e64 v11, s0, s7, v19, s0
	v_cmp_lt_i32_e64 s0, 5, v6
	v_cmp_ne_u32_e64 s1, v21, v23
	v_add_nc_u32_e32 v21, 0xfffffc10, v24
	v_mul_f16_e32 v23, v48, v18
	v_and_or_b32 v4, 0x1ff, v5, v4
	v_lshrrev_b32_e32 v24, 8, v5
	s_wait_alu 0xf1ff
	v_cndmask_b32_e64 v19, 0, 1, s1
	v_cmp_eq_u32_e64 s1, 3, v6
	v_lshrrev_b32_e32 v6, 2, v16
	v_fmac_f16_e32 v23, v46, v7
	s_delay_alu instid0(VALU_DEP_4) | instskip(NEXT) | instid1(VALU_DEP_4)
	v_or_b32_e32 v16, v17, v19
	s_or_b32 s0, s1, s0
	v_lshl_or_b32 v17, v21, 12, v0
	s_wait_alu 0xfffe
	v_add_co_ci_u32_e64 v6, s0, 0, v6, s0
	v_cmp_gt_i32_e64 s0, 1, v21
	v_cvt_f32_f16_e32 v19, v23
	s_wait_alu 0xf1ff
	s_delay_alu instid0(VALU_DEP_2) | instskip(SKIP_1) | instid1(VALU_DEP_3)
	v_cndmask_b32_e64 v23, v17, v16, s0
	v_cmp_ne_u32_e64 s0, 0, v4
	v_cvt_f64_f32_e32 v[16:17], v19
	v_bfe_u32 v19, v5, 20, 11
	v_mul_f64_e32 v[14:15], s[8:9], v[14:15]
	v_and_b32_e32 v25, 7, v23
	s_wait_alu 0xf1ff
	v_cndmask_b32_e64 v4, 0, 1, s0
	v_cmp_ne_u32_e64 s0, 0, v12
	v_lshrrev_b32_e32 v23, 2, v23
	v_cmp_eq_u32_e64 s1, 3, v25
	s_delay_alu instid0(VALU_DEP_4)
	v_and_or_b32 v4, 0xffe, v24, v4
	s_wait_alu 0xf1ff
	v_cndmask_b32_e64 v12, 0, 1, s0
	v_cmp_gt_i32_e64 s0, 31, v22
	v_sub_nc_u32_e32 v24, 0x3f1, v19
	v_add_nc_u32_e32 v19, 0xfffffc10, v19
	v_or_b32_e32 v26, 0x1000, v4
	v_lshl_or_b32 v12, v12, 9, 0x7c00
	s_wait_alu 0xf1ff
	v_cndmask_b32_e64 v6, 0x7c00, v6, s0
	v_cmp_lt_i32_e64 s0, 5, v25
	v_med3_i32 v24, v24, 0, 13
	s_delay_alu instid0(VALU_DEP_3) | instskip(NEXT) | instid1(VALU_DEP_3)
	v_cndmask_b32_e64 v6, v6, v12, s2
	s_or_b32 s0, s1, s0
	s_delay_alu instid0(VALU_DEP_2)
	v_lshrrev_b32_e32 v12, v24, v26
	s_wait_alu 0xfffe
	v_add_co_ci_u32_e64 v22, s0, 0, v23, s0
	v_cmp_ne_u32_e64 s0, 0, v0
	v_and_or_b32 v13, 0x8000, v13, v6
	v_lshlrev_b32_e32 v23, v24, v12
	s_wait_alu 0xf1ff
	s_delay_alu instid0(VALU_DEP_3) | instskip(SKIP_2) | instid1(VALU_DEP_3)
	v_cndmask_b32_e64 v0, 0, 1, s0
	v_cmp_gt_i32_e64 s0, 31, v21
	v_and_b32_e32 v13, 0xffff, v13
	v_lshl_or_b32 v0, v0, 9, 0x7c00
	s_wait_alu 0xf1ff
	s_delay_alu instid0(VALU_DEP_3) | instskip(SKIP_3) | instid1(VALU_DEP_2)
	v_cndmask_b32_e64 v22, 0x7c00, v22, s0
	v_cmp_ne_u32_e64 s0, v23, v26
	v_and_or_b32 v14, 0x1ff, v15, v14
	s_wait_alu 0xf1ff
	v_cndmask_b32_e64 v6, 0, 1, s0
	v_cmp_eq_u32_e64 s0, 0x40f, v21
	ds_load_b32 v21, v42 offset:600
	v_or_b32_e32 v12, v12, v6
	s_wait_alu 0xf1ff
	v_cndmask_b32_e64 v0, v22, v0, s0
	v_mul_f16_e32 v22, v48, v7
	v_mul_f64_e32 v[6:7], s[8:9], v[16:17]
	v_lshl_or_b32 v16, v19, 12, v4
	v_cmp_gt_i32_e64 s0, 1, v19
	s_delay_alu instid0(VALU_DEP_4)
	v_fma_f16 v17, v46, v18, -v22
	v_bfe_u32 v18, v15, 20, 11
	v_and_or_b32 v22, 0x8000, v1, v0
	s_wait_alu 0xf1ff
	v_cndmask_b32_e64 v12, v16, v12, s0
	v_cmp_ne_u32_e64 s0, 0, v14
	v_cvt_f32_f16_e32 v16, v17
	v_lshrrev_b32_e32 v17, 8, v15
	v_lshl_or_b32 v22, v22, 16, v13
	v_and_b32_e32 v23, 7, v12
	s_wait_alu 0xf1ff
	v_cndmask_b32_e64 v14, 0, 1, s0
	v_cvt_f64_f32_e32 v[0:1], v16
	v_sub_nc_u32_e32 v16, 0x3f1, v18
	v_lshrrev_b32_e32 v12, 2, v12
	v_cmp_lt_i32_e64 s0, 5, v23
	v_and_or_b32 v14, 0xffe, v17, v14
	s_wait_dscnt 0x0
	v_lshrrev_b32_e32 v17, 16, v21
	v_cmp_eq_u32_e64 s1, 3, v23
	v_med3_i32 v16, v16, 0, 13
	v_add_nc_u32_e32 v18, 0xfffffc10, v18
	v_or_b32_e32 v24, 0x1000, v14
	v_mul_f16_e32 v25, v47, v17
	s_or_b32 s0, s1, s0
	s_wait_alu 0xfffe
	v_add_co_ci_u32_e64 v12, s0, 0, v12, s0
	v_lshrrev_b32_e32 v23, v16, v24
	v_fmac_f16_e32 v25, v45, v21
	v_cmp_ne_u32_e64 s0, 0, v4
	v_mul_f16_e32 v21, v47, v21
	s_delay_alu instid0(VALU_DEP_4) | instskip(NEXT) | instid1(VALU_DEP_4)
	v_lshlrev_b32_e32 v16, v16, v23
	v_cvt_f32_f16_e32 v13, v25
	s_wait_alu 0xf1ff
	v_cndmask_b32_e64 v4, 0, 1, s0
	v_cmp_gt_i32_e64 s0, 31, v19
	v_and_or_b32 v6, 0x1ff, v7, v6
	v_fma_f16 v17, v45, v17, -v21
	v_lshl_or_b32 v21, v18, 12, v14
	v_lshl_or_b32 v4, v4, 9, 0x7c00
	s_wait_alu 0xf1ff
	v_cndmask_b32_e64 v25, 0x7c00, v12, s0
	v_cvt_f64_f32_e32 v[12:13], v13
	v_cmp_ne_u32_e64 s0, v16, v24
	v_lshrrev_b32_e32 v24, 8, v7
	v_cvt_f32_f16_e32 v17, v17
	s_wait_alu 0xf1ff
	s_delay_alu instid0(VALU_DEP_3) | instskip(SKIP_2) | instid1(VALU_DEP_3)
	v_cndmask_b32_e64 v16, 0, 1, s0
	v_cmp_ne_u32_e64 s0, 0, v6
	v_mul_f64_e32 v[0:1], s[8:9], v[0:1]
	v_or_b32_e32 v16, v23, v16
	s_wait_alu 0xf1ff
	s_delay_alu instid0(VALU_DEP_3) | instskip(SKIP_3) | instid1(VALU_DEP_4)
	v_cndmask_b32_e64 v6, 0, 1, s0
	v_bfe_u32 v23, v7, 20, 11
	v_cmp_gt_i32_e64 s0, 1, v18
	v_lshrrev_b32_e32 v7, 16, v7
	v_and_or_b32 v6, 0xffe, v24, v6
	s_delay_alu instid0(VALU_DEP_4)
	v_sub_nc_u32_e32 v24, 0x3f1, v23
	s_wait_alu 0xf1ff
	v_cndmask_b32_e64 v21, v21, v16, s0
	v_cmp_eq_u32_e64 s0, 0x40f, v19
	v_cvt_f64_f32_e32 v[16:17], v17
	v_or_b32_e32 v26, 0x1000, v6
	v_med3_i32 v24, v24, 0, 13
	v_and_b32_e32 v27, 7, v21
	s_wait_alu 0xf1ff
	v_cndmask_b32_e64 v19, v25, v4, s0
	v_add_co_u32 v4, s0, v10, s6
	v_lshrrev_b32_e32 v28, v24, v26
	v_lshrrev_b32_e32 v25, 16, v5
	s_wait_alu 0xf1ff
	v_add_co_ci_u32_e64 v5, s0, s7, v11, s0
	v_cmp_lt_i32_e64 s0, 5, v27
	v_cmp_eq_u32_e64 s1, 3, v27
	v_lshrrev_b32_e32 v21, 2, v21
	v_lshlrev_b32_e32 v24, v24, v28
	v_add_nc_u32_e32 v23, 0xfffffc10, v23
	v_and_or_b32 v19, 0x8000, v25, v19
	s_or_b32 s0, s1, s0
	v_mul_f64_e32 v[12:13], s[8:9], v[12:13]
	s_wait_alu 0xfffe
	v_add_co_ci_u32_e64 v21, s0, 0, v21, s0
	v_cmp_ne_u32_e64 s2, v24, v26
	v_cmp_ne_u32_e64 s0, 0, v14
	v_lshl_or_b32 v25, v23, 12, v6
	s_wait_alu 0xf1ff
	s_delay_alu instid0(VALU_DEP_3) | instskip(NEXT) | instid1(VALU_DEP_3)
	v_cndmask_b32_e64 v24, 0, 1, s2
	v_cndmask_b32_e64 v14, 0, 1, s0
	v_cmp_gt_i32_e64 s0, 31, v18
	v_and_or_b32 v0, 0x1ff, v1, v0
	v_lshrrev_b32_e32 v26, 8, v1
	v_or_b32_e32 v24, v28, v24
	v_lshl_or_b32 v14, v14, 9, 0x7c00
	s_wait_alu 0xf1ff
	v_cndmask_b32_e64 v21, 0x7c00, v21, s0
	v_cmp_gt_i32_e64 s0, 1, v23
	s_wait_alu 0xf1ff
	s_delay_alu instid0(VALU_DEP_1) | instskip(SKIP_1) | instid1(VALU_DEP_2)
	v_cndmask_b32_e64 v24, v25, v24, s0
	v_cmp_eq_u32_e64 s0, 0x40f, v18
	v_and_b32_e32 v25, 7, v24
	s_wait_alu 0xf1ff
	s_delay_alu instid0(VALU_DEP_2)
	v_cndmask_b32_e64 v18, v21, v14, s0
	v_lshrrev_b32_e32 v21, 16, v15
	v_cmp_ne_u32_e64 s0, 0, v0
	v_mul_f64_e32 v[14:15], s[8:9], v[16:17]
	v_bfe_u32 v16, v1, 20, 11
	v_cmp_eq_u32_e64 s1, 3, v25
	v_and_or_b32 v17, 0x8000, v21, v18
	v_and_b32_e32 v18, 0xffff, v19
	s_wait_alu 0xf1ff
	v_cndmask_b32_e64 v0, 0, 1, s0
	v_cmp_lt_i32_e64 s0, 5, v25
	v_sub_nc_u32_e32 v19, 0x3f1, v16
	v_and_or_b32 v12, 0x1ff, v13, v12
	v_lshl_or_b32 v17, v17, 16, v18
	v_lshrrev_b32_e32 v18, 2, v24
	v_and_or_b32 v0, 0xffe, v26, v0
	s_or_b32 s0, s1, s0
	v_med3_i32 v19, v19, 0, 13
	v_lshrrev_b32_e32 v25, 8, v13
	s_wait_alu 0xfffe
	v_add_co_ci_u32_e64 v18, s0, 0, v18, s0
	v_or_b32_e32 v21, 0x1000, v0
	v_cmp_ne_u32_e64 s0, 0, v6
	v_bfe_u32 v26, v13, 20, 11
	v_add_nc_u32_e32 v16, 0xfffffc10, v16
	v_lshrrev_b32_e32 v1, 16, v1
	v_lshrrev_b32_e32 v24, v19, v21
	s_wait_alu 0xf1ff
	v_cndmask_b32_e64 v6, 0, 1, s0
	v_cmp_gt_i32_e64 s0, 31, v23
	v_lshrrev_b32_e32 v13, 16, v13
	v_lshlrev_b32_e32 v19, v19, v24
	s_delay_alu instid0(VALU_DEP_4) | instskip(SKIP_4) | instid1(VALU_DEP_1)
	v_lshl_or_b32 v6, v6, 9, 0x7c00
	s_wait_alu 0xf1ff
	v_cndmask_b32_e64 v18, 0x7c00, v18, s0
	v_cmp_ne_u32_e64 s0, 0, v12
	s_wait_alu 0xf1ff
	v_cndmask_b32_e64 v12, 0, 1, s0
	v_cmp_ne_u32_e64 s0, v19, v21
	v_sub_nc_u32_e32 v21, 0x3f1, v26
	v_and_or_b32 v14, 0x1ff, v15, v14
	s_delay_alu instid0(VALU_DEP_4)
	v_and_or_b32 v12, 0xffe, v25, v12
	s_wait_alu 0xf1ff
	v_cndmask_b32_e64 v19, 0, 1, s0
	v_cmp_eq_u32_e64 s0, 0x40f, v23
	v_med3_i32 v21, v21, 0, 13
	v_bfe_u32 v25, v15, 20, 11
	v_or_b32_e32 v23, 0x1000, v12
	s_wait_alu 0xf1ff
	v_cndmask_b32_e64 v6, v18, v6, s0
	v_or_b32_e32 v18, v24, v19
	v_lshl_or_b32 v19, v16, 12, v0
	v_cmp_gt_i32_e64 s0, 1, v16
	v_lshrrev_b32_e32 v24, 8, v15
	v_and_or_b32 v6, 0x8000, v7, v6
	s_wait_alu 0xf1ff
	s_delay_alu instid0(VALU_DEP_3) | instskip(SKIP_2) | instid1(VALU_DEP_3)
	v_cndmask_b32_e64 v18, v19, v18, s0
	v_lshrrev_b32_e32 v19, v21, v23
	v_cmp_ne_u32_e64 s0, 0, v14
	v_and_b32_e32 v27, 7, v18
	s_delay_alu instid0(VALU_DEP_3) | instskip(SKIP_1) | instid1(VALU_DEP_3)
	v_lshlrev_b32_e32 v21, v21, v19
	s_wait_alu 0xf1ff
	v_cndmask_b32_e64 v14, 0, 1, s0
	v_lshrrev_b32_e32 v18, 2, v18
	v_cmp_lt_i32_e64 s0, 5, v27
	v_cmp_ne_u32_e64 s1, v21, v23
	s_delay_alu instid0(VALU_DEP_4)
	v_and_or_b32 v7, 0xffe, v24, v14
	v_sub_nc_u32_e32 v14, 0x3f1, v25
	v_add_nc_u32_e32 v24, 0xfffffc10, v26
	s_wait_alu 0xf1ff
	v_cndmask_b32_e64 v21, 0, 1, s1
	v_cmp_eq_u32_e64 s1, 3, v27
	v_or_b32_e32 v23, 0x1000, v7
	v_med3_i32 v14, v14, 0, 13
	v_lshl_or_b32 v26, v24, 12, v12
	v_or_b32_e32 v19, v19, v21
	s_or_b32 s0, s1, s0
	s_wait_alu 0xfffe
	v_add_co_ci_u32_e64 v18, s0, 0, v18, s0
	v_lshrrev_b32_e32 v21, v14, v23
	v_cmp_gt_i32_e64 s0, 1, v24
	s_delay_alu instid0(VALU_DEP_2) | instskip(SKIP_1) | instid1(VALU_DEP_2)
	v_lshlrev_b32_e32 v14, v14, v21
	s_wait_alu 0xf1ff
	v_cndmask_b32_e64 v19, v26, v19, s0
	v_cmp_ne_u32_e64 s0, 0, v0
	s_wait_alu 0xf1ff
	s_delay_alu instid0(VALU_DEP_1) | instskip(SKIP_3) | instid1(VALU_DEP_4)
	v_cndmask_b32_e64 v0, 0, 1, s0
	v_cmp_ne_u32_e64 s0, v14, v23
	v_add_nc_u32_e32 v23, 0xfffffc10, v25
	v_and_b32_e32 v25, 7, v19
	v_lshl_or_b32 v0, v0, 9, 0x7c00
	s_wait_alu 0xf1ff
	v_cndmask_b32_e64 v14, 0, 1, s0
	v_cmp_gt_i32_e64 s0, 31, v16
	v_cmp_gt_i32_e64 s2, 1, v23
	v_cmp_eq_u32_e64 s1, 3, v25
	s_delay_alu instid0(VALU_DEP_4) | instskip(SKIP_4) | instid1(VALU_DEP_3)
	v_or_b32_e32 v14, v21, v14
	v_lshl_or_b32 v21, v23, 12, v7
	s_wait_alu 0xf1ff
	v_cndmask_b32_e64 v18, 0x7c00, v18, s0
	v_cmp_lt_i32_e64 s0, 5, v25
	v_cndmask_b32_e64 v14, v21, v14, s2
	v_cmp_eq_u32_e64 s2, 0x40f, v16
	v_lshrrev_b32_e32 v16, 2, v19
	s_delay_alu instid0(VALU_DEP_4) | instskip(NEXT) | instid1(VALU_DEP_2)
	s_or_b32 s0, s1, s0
	v_cndmask_b32_e64 v0, v18, v0, s2
	s_wait_alu 0xfffe
	s_delay_alu instid0(VALU_DEP_2)
	v_add_co_ci_u32_e64 v16, s0, 0, v16, s0
	v_and_b32_e32 v18, 7, v14
	v_cmp_ne_u32_e64 s0, 0, v12
	v_lshrrev_b32_e32 v14, 2, v14
	v_cmp_gt_i32_e64 s2, 31, v24
	v_and_or_b32 v0, 0x8000, v1, v0
	v_cmp_eq_u32_e64 s1, 3, v18
	s_wait_alu 0xf1ff
	v_cndmask_b32_e64 v12, 0, 1, s0
	v_cmp_lt_i32_e64 s0, 5, v18
	v_cndmask_b32_e64 v16, 0x7c00, v16, s2
	v_and_b32_e32 v1, 0xffff, v6
	s_delay_alu instid0(VALU_DEP_4) | instskip(NEXT) | instid1(VALU_DEP_4)
	v_lshl_or_b32 v12, v12, 9, 0x7c00
	s_or_b32 s0, s1, s0
	s_wait_alu 0xfffe
	v_add_co_ci_u32_e64 v14, s0, 0, v14, s0
	v_cmp_ne_u32_e64 s0, 0, v7
	s_wait_alu 0xf1ff
	s_delay_alu instid0(VALU_DEP_1) | instskip(SKIP_1) | instid1(VALU_DEP_2)
	v_cndmask_b32_e64 v7, 0, 1, s0
	v_cmp_eq_u32_e64 s0, 0x40f, v24
	v_lshl_or_b32 v7, v7, 9, 0x7c00
	s_wait_alu 0xf1ff
	s_delay_alu instid0(VALU_DEP_2) | instskip(SKIP_1) | instid1(VALU_DEP_2)
	v_cndmask_b32_e64 v12, v16, v12, s0
	v_cmp_gt_i32_e64 s0, 31, v23
	v_and_or_b32 v12, 0x8000, v13, v12
	s_wait_alu 0xf1ff
	s_delay_alu instid0(VALU_DEP_2) | instskip(SKIP_2) | instid1(VALU_DEP_1)
	v_cndmask_b32_e64 v14, 0x7c00, v14, s0
	v_cmp_eq_u32_e64 s0, 0x40f, v23
	s_wait_alu 0xf1ff
	v_cndmask_b32_e64 v13, v14, v7, s0
	v_lshrrev_b32_e32 v14, 16, v15
	v_add_co_u32 v6, s0, v4, s6
	s_wait_alu 0xf1ff
	v_add_co_ci_u32_e64 v7, s0, s7, v5, s0
	v_lshl_or_b32 v15, v0, 16, v1
	v_and_or_b32 v0, 0x8000, v14, v13
	v_and_b32_e32 v1, 0xffff, v12
	v_add_co_u32 v12, s0, v6, s6
	s_wait_alu 0xf1ff
	v_add_co_ci_u32_e64 v13, s0, s7, v7, s0
	s_delay_alu instid0(VALU_DEP_3) | instskip(NEXT) | instid1(VALU_DEP_3)
	v_lshl_or_b32 v14, v0, 16, v1
	v_add_co_u32 v0, s0, v12, s6
	s_wait_alu 0xf1ff
	s_delay_alu instid0(VALU_DEP_3)
	v_add_co_ci_u32_e64 v1, s0, s7, v13, s0
	global_store_b32 v[10:11], v20, off
	global_store_b32 v[4:5], v22, off
	;; [unrolled: 1-line block ×5, first 2 shown]
	s_and_b32 exec_lo, exec_lo, vcc_lo
	s_cbranch_execz .LBB0_15
; %bb.14:
	global_load_b32 v4, v[8:9], off offset:44
	ds_load_b32 v5, v68 offset:44
	v_mad_co_u64_u32 v[0:1], null, 0xfffffdd4, s4, v[0:1]
	s_mul_i32 s3, s5, 0x78
	s_wait_dscnt 0x0
	v_lshrrev_b32_e32 v6, 16, v5
	s_wait_loadcnt 0x0
	v_lshrrev_b32_e32 v7, 16, v4
	s_delay_alu instid0(VALU_DEP_1) | instskip(SKIP_1) | instid1(VALU_DEP_2)
	v_mul_f16_e32 v10, v6, v7
	v_mul_f16_e32 v7, v5, v7
	v_fmac_f16_e32 v10, v5, v4
	s_delay_alu instid0(VALU_DEP_2) | instskip(NEXT) | instid1(VALU_DEP_2)
	v_fma_f16 v4, v4, v6, -v7
	v_cvt_f32_f16_e32 v5, v10
	s_delay_alu instid0(VALU_DEP_2) | instskip(NEXT) | instid1(VALU_DEP_2)
	v_cvt_f32_f16_e32 v6, v4
	v_cvt_f64_f32_e32 v[4:5], v5
	s_delay_alu instid0(VALU_DEP_2) | instskip(NEXT) | instid1(VALU_DEP_2)
	v_cvt_f64_f32_e32 v[6:7], v6
	v_mul_f64_e32 v[4:5], s[8:9], v[4:5]
	s_delay_alu instid0(VALU_DEP_2) | instskip(NEXT) | instid1(VALU_DEP_2)
	v_mul_f64_e32 v[6:7], s[8:9], v[6:7]
	v_and_or_b32 v4, 0x1ff, v5, v4
	s_delay_alu instid0(VALU_DEP_2)
	v_and_or_b32 v6, 0x1ff, v7, v6
	v_lshrrev_b32_e32 v10, 8, v5
	v_bfe_u32 v11, v5, 20, 11
	v_lshrrev_b32_e32 v12, 8, v7
	v_cmp_ne_u32_e32 vcc_lo, 0, v4
	v_bfe_u32 v13, v7, 20, 11
	v_lshrrev_b32_e32 v5, 16, v5
	v_sub_nc_u32_e32 v14, 0x3f1, v11
	v_lshrrev_b32_e32 v7, 16, v7
	s_wait_alu 0xfffd
	v_cndmask_b32_e64 v4, 0, 1, vcc_lo
	v_cmp_ne_u32_e32 vcc_lo, 0, v6
	s_delay_alu instid0(VALU_DEP_2) | instskip(SKIP_3) | instid1(VALU_DEP_2)
	v_and_or_b32 v4, 0xffe, v10, v4
	s_wait_alu 0xfffd
	v_cndmask_b32_e64 v6, 0, 1, vcc_lo
	v_sub_nc_u32_e32 v10, 0x3f1, v13
	v_and_or_b32 v6, 0xffe, v12, v6
	v_med3_i32 v12, v14, 0, 13
	v_or_b32_e32 v14, 0x1000, v4
	s_delay_alu instid0(VALU_DEP_4) | instskip(NEXT) | instid1(VALU_DEP_4)
	v_med3_i32 v10, v10, 0, 13
	v_or_b32_e32 v15, 0x1000, v6
	s_delay_alu instid0(VALU_DEP_3) | instskip(NEXT) | instid1(VALU_DEP_2)
	v_lshrrev_b32_e32 v16, v12, v14
	v_lshrrev_b32_e32 v17, v10, v15
	s_delay_alu instid0(VALU_DEP_2) | instskip(NEXT) | instid1(VALU_DEP_2)
	v_lshlrev_b32_e32 v12, v12, v16
	v_lshlrev_b32_e32 v10, v10, v17
	s_delay_alu instid0(VALU_DEP_2) | instskip(SKIP_2) | instid1(VALU_DEP_3)
	v_cmp_ne_u32_e32 vcc_lo, v12, v14
	s_wait_alu 0xfffd
	v_cndmask_b32_e64 v12, 0, 1, vcc_lo
	v_cmp_ne_u32_e32 vcc_lo, v10, v15
	s_delay_alu instid0(VALU_DEP_2) | instskip(SKIP_3) | instid1(VALU_DEP_2)
	v_or_b32_e32 v12, v16, v12
	v_add_nc_u32_e32 v11, 0xfffffc10, v11
	s_wait_alu 0xfffd
	v_cndmask_b32_e64 v10, 0, 1, vcc_lo
	v_lshl_or_b32 v14, v11, 12, v4
	s_delay_alu instid0(VALU_DEP_2) | instskip(SKIP_2) | instid1(VALU_DEP_2)
	v_or_b32_e32 v10, v17, v10
	v_add_nc_u32_e32 v13, 0xfffffc10, v13
	v_cmp_gt_i32_e32 vcc_lo, 1, v11
	v_lshl_or_b32 v15, v13, 12, v6
	s_wait_alu 0xfffd
	v_cndmask_b32_e32 v12, v14, v12, vcc_lo
	v_cmp_gt_i32_e32 vcc_lo, 1, v13
	s_delay_alu instid0(VALU_DEP_2)
	v_and_b32_e32 v14, 7, v12
	s_wait_alu 0xfffd
	v_cndmask_b32_e32 v10, v15, v10, vcc_lo
	v_cmp_ne_u32_e32 vcc_lo, 0, v4
	v_lshrrev_b32_e32 v12, 2, v12
	v_cmp_eq_u32_e64 s0, 3, v14
	s_wait_alu 0xfffd
	v_cndmask_b32_e64 v4, 0, 1, vcc_lo
	v_cmp_ne_u32_e32 vcc_lo, 0, v6
	s_delay_alu instid0(VALU_DEP_2) | instskip(SKIP_3) | instid1(VALU_DEP_2)
	v_lshl_or_b32 v4, v4, 9, 0x7c00
	s_wait_alu 0xfffd
	v_cndmask_b32_e64 v6, 0, 1, vcc_lo
	v_cmp_lt_i32_e32 vcc_lo, 5, v14
	v_lshl_or_b32 v6, v6, 9, 0x7c00
	s_or_b32 vcc_lo, s0, vcc_lo
	s_mul_i32 s0, s5, 0xfffffdd4
	s_wait_alu 0xfffe
	v_add_co_ci_u32_e32 v12, vcc_lo, 0, v12, vcc_lo
	v_and_b32_e32 v15, 7, v10
	v_lshrrev_b32_e32 v10, 2, v10
	s_sub_co_i32 s0, s0, s4
	s_wait_alu 0xfffe
	v_add_nc_u32_e32 v1, s0, v1
	v_cmp_lt_i32_e64 s1, 5, v15
	v_cmp_eq_u32_e64 s2, 3, v15
	s_delay_alu instid0(VALU_DEP_1)
	s_or_b32 vcc_lo, s2, s1
	s_wait_alu 0xfffe
	v_add_co_ci_u32_e32 v10, vcc_lo, 0, v10, vcc_lo
	v_cmp_gt_i32_e32 vcc_lo, 31, v11
	s_wait_alu 0xfffd
	v_cndmask_b32_e32 v12, 0x7c00, v12, vcc_lo
	v_cmp_gt_i32_e32 vcc_lo, 31, v13
	s_wait_alu 0xfffd
	v_cndmask_b32_e32 v10, 0x7c00, v10, vcc_lo
	v_cmp_eq_u32_e32 vcc_lo, 0x40f, v11
	s_wait_alu 0xfffd
	v_cndmask_b32_e32 v4, v12, v4, vcc_lo
	v_cmp_eq_u32_e32 vcc_lo, 0x40f, v13
	s_delay_alu instid0(VALU_DEP_2) | instskip(SKIP_2) | instid1(VALU_DEP_2)
	v_and_or_b32 v4, 0x8000, v5, v4
	s_wait_alu 0xfffd
	v_cndmask_b32_e32 v6, v10, v6, vcc_lo
	v_and_b32_e32 v4, 0xffff, v4
	s_delay_alu instid0(VALU_DEP_2) | instskip(NEXT) | instid1(VALU_DEP_1)
	v_and_or_b32 v5, 0x8000, v7, v6
	v_lshl_or_b32 v4, v5, 16, v4
	global_store_b32 v[0:1], v4, off
	global_load_b32 v6, v[8:9], off offset:104
	ds_load_2addr_b32 v[4:5], v42 offset0:26 offset1:41
	s_wait_dscnt 0x0
	v_lshrrev_b32_e32 v7, 16, v4
	s_wait_loadcnt 0x0
	v_lshrrev_b32_e32 v10, 16, v6
	s_delay_alu instid0(VALU_DEP_1) | instskip(SKIP_1) | instid1(VALU_DEP_2)
	v_mul_f16_e32 v11, v7, v10
	v_mul_f16_e32 v10, v4, v10
	v_fmac_f16_e32 v11, v4, v6
	s_delay_alu instid0(VALU_DEP_2) | instskip(NEXT) | instid1(VALU_DEP_2)
	v_fma_f16 v4, v6, v7, -v10
	v_cvt_f32_f16_e32 v6, v11
	s_delay_alu instid0(VALU_DEP_2) | instskip(NEXT) | instid1(VALU_DEP_2)
	v_cvt_f32_f16_e32 v4, v4
	v_cvt_f64_f32_e32 v[6:7], v6
	s_delay_alu instid0(VALU_DEP_2) | instskip(NEXT) | instid1(VALU_DEP_2)
	v_cvt_f64_f32_e32 v[10:11], v4
	v_mul_f64_e32 v[6:7], s[8:9], v[6:7]
	s_delay_alu instid0(VALU_DEP_2) | instskip(NEXT) | instid1(VALU_DEP_2)
	v_mul_f64_e32 v[10:11], s[8:9], v[10:11]
	v_and_or_b32 v4, 0x1ff, v7, v6
	s_delay_alu instid0(VALU_DEP_2)
	v_and_or_b32 v10, 0x1ff, v11, v10
	v_lshrrev_b32_e32 v6, 8, v7
	v_bfe_u32 v12, v7, 20, 11
	v_lshrrev_b32_e32 v13, 8, v11
	v_cmp_ne_u32_e32 vcc_lo, 0, v4
	v_bfe_u32 v14, v11, 20, 11
	v_lshrrev_b32_e32 v7, 16, v7
	v_sub_nc_u32_e32 v15, 0x3f1, v12
	v_add_nc_u32_e32 v12, 0xfffffc10, v12
	s_wait_alu 0xfffd
	v_cndmask_b32_e64 v4, 0, 1, vcc_lo
	v_cmp_ne_u32_e32 vcc_lo, 0, v10
	v_lshrrev_b32_e32 v11, 16, v11
	s_delay_alu instid0(VALU_DEP_3) | instskip(SKIP_4) | instid1(VALU_DEP_3)
	v_and_or_b32 v4, 0xffe, v6, v4
	s_wait_alu 0xfffd
	v_cndmask_b32_e64 v10, 0, 1, vcc_lo
	v_sub_nc_u32_e32 v6, 0x3f1, v14
	v_add_nc_u32_e32 v14, 0xfffffc10, v14
	v_and_or_b32 v10, 0xffe, v13, v10
	v_med3_i32 v13, v15, 0, 13
	v_or_b32_e32 v15, 0x1000, v4
	v_med3_i32 v6, v6, 0, 13
	s_delay_alu instid0(VALU_DEP_4) | instskip(NEXT) | instid1(VALU_DEP_3)
	v_or_b32_e32 v16, 0x1000, v10
	v_lshrrev_b32_e32 v17, v13, v15
	s_delay_alu instid0(VALU_DEP_2) | instskip(NEXT) | instid1(VALU_DEP_2)
	v_lshrrev_b32_e32 v18, v6, v16
	v_lshlrev_b32_e32 v13, v13, v17
	s_delay_alu instid0(VALU_DEP_2) | instskip(NEXT) | instid1(VALU_DEP_2)
	v_lshlrev_b32_e32 v6, v6, v18
	v_cmp_ne_u32_e32 vcc_lo, v13, v15
	v_lshl_or_b32 v15, v12, 12, v4
	s_wait_alu 0xfffd
	v_cndmask_b32_e64 v13, 0, 1, vcc_lo
	v_cmp_ne_u32_e32 vcc_lo, v6, v16
	v_lshl_or_b32 v16, v14, 12, v10
	s_delay_alu instid0(VALU_DEP_3) | instskip(SKIP_3) | instid1(VALU_DEP_2)
	v_or_b32_e32 v13, v17, v13
	s_wait_alu 0xfffd
	v_cndmask_b32_e64 v6, 0, 1, vcc_lo
	v_cmp_gt_i32_e32 vcc_lo, 1, v12
	v_or_b32_e32 v6, v18, v6
	s_wait_alu 0xfffd
	v_cndmask_b32_e32 v13, v15, v13, vcc_lo
	v_cmp_gt_i32_e32 vcc_lo, 1, v14
	s_wait_alu 0xfffd
	s_delay_alu instid0(VALU_DEP_2) | instskip(SKIP_2) | instid1(VALU_DEP_3)
	v_dual_cndmask_b32 v6, v16, v6 :: v_dual_and_b32 v15, 7, v13
	v_cmp_ne_u32_e32 vcc_lo, 0, v4
	v_lshrrev_b32_e32 v13, 2, v13
	v_cmp_eq_u32_e64 s0, 3, v15
	s_delay_alu instid0(VALU_DEP_4)
	v_and_b32_e32 v16, 7, v6
	s_wait_alu 0xfffd
	v_cndmask_b32_e64 v4, 0, 1, vcc_lo
	v_cmp_ne_u32_e32 vcc_lo, 0, v10
	v_lshrrev_b32_e32 v6, 2, v6
	v_cmp_lt_i32_e64 s1, 5, v16
	v_cmp_eq_u32_e64 s2, 3, v16
	s_wait_alu 0xfffd
	v_cndmask_b32_e64 v10, 0, 1, vcc_lo
	v_cmp_lt_i32_e32 vcc_lo, 5, v15
	v_lshl_or_b32 v4, v4, 9, 0x7c00
	s_delay_alu instid0(VALU_DEP_3)
	v_lshl_or_b32 v10, v10, 9, 0x7c00
	s_or_b32 vcc_lo, s0, vcc_lo
	s_wait_alu 0xfffe
	v_add_co_ci_u32_e32 v13, vcc_lo, 0, v13, vcc_lo
	s_or_b32 vcc_lo, s2, s1
	s_wait_alu 0xfffe
	v_add_co_ci_u32_e32 v6, vcc_lo, 0, v6, vcc_lo
	v_cmp_gt_i32_e32 vcc_lo, 31, v12
	s_wait_alu 0xfffd
	v_cndmask_b32_e32 v13, 0x7c00, v13, vcc_lo
	v_cmp_gt_i32_e32 vcc_lo, 31, v14
	s_wait_alu 0xfffd
	v_cndmask_b32_e32 v6, 0x7c00, v6, vcc_lo
	v_cmp_eq_u32_e32 vcc_lo, 0x40f, v12
	s_wait_alu 0xfffd
	v_cndmask_b32_e32 v4, v13, v4, vcc_lo
	v_cmp_eq_u32_e32 vcc_lo, 0x40f, v14
	s_delay_alu instid0(VALU_DEP_2)
	v_and_or_b32 v4, 0x8000, v7, v4
	s_wait_alu 0xfffd
	v_cndmask_b32_e32 v6, v6, v10, vcc_lo
	v_add_co_u32 v0, vcc_lo, v0, s6
	s_wait_alu 0xfffd
	v_add_co_ci_u32_e32 v1, vcc_lo, s7, v1, vcc_lo
	s_delay_alu instid0(VALU_DEP_3) | instskip(SKIP_1) | instid1(VALU_DEP_1)
	v_and_or_b32 v6, 0x8000, v11, v6
	v_and_b32_e32 v4, 0xffff, v4
	v_lshl_or_b32 v4, v6, 16, v4
	v_lshrrev_b32_e32 v6, 16, v5
	global_store_b32 v[0:1], v4, off
	global_load_b32 v4, v[8:9], off offset:164
	s_wait_loadcnt 0x0
	v_lshrrev_b32_e32 v7, 16, v4
	s_delay_alu instid0(VALU_DEP_1) | instskip(SKIP_1) | instid1(VALU_DEP_2)
	v_mul_f16_e32 v10, v6, v7
	v_mul_f16_e32 v7, v5, v7
	v_fmac_f16_e32 v10, v5, v4
	s_delay_alu instid0(VALU_DEP_2) | instskip(NEXT) | instid1(VALU_DEP_2)
	v_fma_f16 v4, v4, v6, -v7
	v_cvt_f32_f16_e32 v5, v10
	s_delay_alu instid0(VALU_DEP_2) | instskip(NEXT) | instid1(VALU_DEP_2)
	v_cvt_f32_f16_e32 v6, v4
	v_cvt_f64_f32_e32 v[4:5], v5
	s_delay_alu instid0(VALU_DEP_2) | instskip(NEXT) | instid1(VALU_DEP_2)
	v_cvt_f64_f32_e32 v[6:7], v6
	v_mul_f64_e32 v[4:5], s[8:9], v[4:5]
	s_delay_alu instid0(VALU_DEP_2) | instskip(NEXT) | instid1(VALU_DEP_2)
	v_mul_f64_e32 v[6:7], s[8:9], v[6:7]
	v_and_or_b32 v4, 0x1ff, v5, v4
	s_delay_alu instid0(VALU_DEP_2)
	v_and_or_b32 v6, 0x1ff, v7, v6
	v_lshrrev_b32_e32 v10, 8, v5
	v_bfe_u32 v11, v5, 20, 11
	v_lshrrev_b32_e32 v12, 8, v7
	v_cmp_ne_u32_e32 vcc_lo, 0, v4
	v_bfe_u32 v13, v7, 20, 11
	v_lshrrev_b32_e32 v5, 16, v5
	v_sub_nc_u32_e32 v14, 0x3f1, v11
	v_add_nc_u32_e32 v11, 0xfffffc10, v11
	s_wait_alu 0xfffd
	v_cndmask_b32_e64 v4, 0, 1, vcc_lo
	v_cmp_ne_u32_e32 vcc_lo, 0, v6
	v_lshrrev_b32_e32 v7, 16, v7
	s_delay_alu instid0(VALU_DEP_3) | instskip(SKIP_4) | instid1(VALU_DEP_3)
	v_and_or_b32 v4, 0xffe, v10, v4
	s_wait_alu 0xfffd
	v_cndmask_b32_e64 v6, 0, 1, vcc_lo
	v_sub_nc_u32_e32 v10, 0x3f1, v13
	v_add_nc_u32_e32 v13, 0xfffffc10, v13
	v_and_or_b32 v6, 0xffe, v12, v6
	v_med3_i32 v12, v14, 0, 13
	v_or_b32_e32 v14, 0x1000, v4
	v_med3_i32 v10, v10, 0, 13
	s_delay_alu instid0(VALU_DEP_4) | instskip(NEXT) | instid1(VALU_DEP_3)
	v_or_b32_e32 v15, 0x1000, v6
	v_lshrrev_b32_e32 v16, v12, v14
	s_delay_alu instid0(VALU_DEP_2) | instskip(NEXT) | instid1(VALU_DEP_2)
	v_lshrrev_b32_e32 v17, v10, v15
	v_lshlrev_b32_e32 v12, v12, v16
	s_delay_alu instid0(VALU_DEP_2) | instskip(NEXT) | instid1(VALU_DEP_2)
	v_lshlrev_b32_e32 v10, v10, v17
	v_cmp_ne_u32_e32 vcc_lo, v12, v14
	v_lshl_or_b32 v14, v11, 12, v4
	s_wait_alu 0xfffd
	v_cndmask_b32_e64 v12, 0, 1, vcc_lo
	v_cmp_ne_u32_e32 vcc_lo, v10, v15
	v_lshl_or_b32 v15, v13, 12, v6
	s_delay_alu instid0(VALU_DEP_3) | instskip(SKIP_3) | instid1(VALU_DEP_2)
	v_or_b32_e32 v12, v16, v12
	s_wait_alu 0xfffd
	v_cndmask_b32_e64 v10, 0, 1, vcc_lo
	v_cmp_gt_i32_e32 vcc_lo, 1, v11
	v_or_b32_e32 v10, v17, v10
	s_wait_alu 0xfffd
	v_cndmask_b32_e32 v12, v14, v12, vcc_lo
	v_cmp_gt_i32_e32 vcc_lo, 1, v13
	s_wait_alu 0xfffd
	v_cndmask_b32_e32 v10, v15, v10, vcc_lo
	v_cmp_ne_u32_e32 vcc_lo, 0, v4
	s_delay_alu instid0(VALU_DEP_2)
	v_and_b32_e32 v15, 7, v10
	s_wait_alu 0xfffd
	v_cndmask_b32_e64 v4, 0, 1, vcc_lo
	v_and_b32_e32 v14, 7, v12
	v_cmp_ne_u32_e32 vcc_lo, 0, v6
	v_lshrrev_b32_e32 v12, 2, v12
	v_cmp_lt_i32_e64 s1, 5, v15
	v_cmp_eq_u32_e64 s2, 3, v15
	v_cmp_eq_u32_e64 s0, 3, v14
	s_wait_alu 0xfffd
	v_cndmask_b32_e64 v6, 0, 1, vcc_lo
	v_cmp_lt_i32_e32 vcc_lo, 5, v14
	v_lshrrev_b32_e32 v10, 2, v10
	v_lshl_or_b32 v4, v4, 9, 0x7c00
	s_delay_alu instid0(VALU_DEP_4)
	v_lshl_or_b32 v6, v6, 9, 0x7c00
	s_or_b32 vcc_lo, s0, vcc_lo
	s_wait_alu 0xfffe
	v_add_co_ci_u32_e32 v12, vcc_lo, 0, v12, vcc_lo
	s_or_b32 vcc_lo, s2, s1
	s_wait_alu 0xfffe
	v_add_co_ci_u32_e32 v10, vcc_lo, 0, v10, vcc_lo
	v_cmp_gt_i32_e32 vcc_lo, 31, v11
	s_wait_alu 0xfffd
	v_cndmask_b32_e32 v12, 0x7c00, v12, vcc_lo
	v_cmp_gt_i32_e32 vcc_lo, 31, v13
	s_wait_alu 0xfffd
	v_cndmask_b32_e32 v10, 0x7c00, v10, vcc_lo
	v_cmp_eq_u32_e32 vcc_lo, 0x40f, v11
	s_wait_alu 0xfffd
	v_cndmask_b32_e32 v4, v12, v4, vcc_lo
	v_cmp_eq_u32_e32 vcc_lo, 0x40f, v13
	s_delay_alu instid0(VALU_DEP_2)
	v_and_or_b32 v4, 0x8000, v5, v4
	s_wait_alu 0xfffd
	v_cndmask_b32_e32 v6, v10, v6, vcc_lo
	v_add_co_u32 v0, vcc_lo, v0, s6
	s_wait_alu 0xfffd
	v_add_co_ci_u32_e32 v1, vcc_lo, s7, v1, vcc_lo
	s_delay_alu instid0(VALU_DEP_3) | instskip(SKIP_1) | instid1(VALU_DEP_1)
	v_and_or_b32 v5, 0x8000, v7, v6
	v_and_b32_e32 v4, 0xffff, v4
	v_lshl_or_b32 v4, v5, 16, v4
	global_store_b32 v[0:1], v4, off
	global_load_b32 v6, v[8:9], off offset:224
	ds_load_2addr_b32 v[4:5], v42 offset0:56 offset1:71
	v_mad_co_u64_u32 v[0:1], null, 0x78, s4, v[0:1]
	s_delay_alu instid0(VALU_DEP_1) | instskip(SKIP_4) | instid1(VALU_DEP_1)
	v_add_nc_u32_e32 v1, s3, v1
	s_wait_dscnt 0x0
	v_lshrrev_b32_e32 v7, 16, v4
	s_wait_loadcnt 0x0
	v_lshrrev_b32_e32 v10, 16, v6
	v_mul_f16_e32 v11, v7, v10
	v_mul_f16_e32 v10, v4, v10
	s_delay_alu instid0(VALU_DEP_2) | instskip(NEXT) | instid1(VALU_DEP_2)
	v_fmac_f16_e32 v11, v4, v6
	v_fma_f16 v4, v6, v7, -v10
	s_delay_alu instid0(VALU_DEP_2) | instskip(NEXT) | instid1(VALU_DEP_2)
	v_cvt_f32_f16_e32 v6, v11
	v_cvt_f32_f16_e32 v4, v4
	s_delay_alu instid0(VALU_DEP_2) | instskip(NEXT) | instid1(VALU_DEP_2)
	v_cvt_f64_f32_e32 v[6:7], v6
	v_cvt_f64_f32_e32 v[10:11], v4
	s_delay_alu instid0(VALU_DEP_2) | instskip(NEXT) | instid1(VALU_DEP_2)
	v_mul_f64_e32 v[6:7], s[8:9], v[6:7]
	v_mul_f64_e32 v[10:11], s[8:9], v[10:11]
	s_delay_alu instid0(VALU_DEP_2) | instskip(NEXT) | instid1(VALU_DEP_2)
	v_and_or_b32 v4, 0x1ff, v7, v6
	v_and_or_b32 v10, 0x1ff, v11, v10
	v_lshrrev_b32_e32 v6, 8, v7
	v_bfe_u32 v14, v7, 20, 11
	v_lshrrev_b32_e32 v12, 8, v11
	v_cmp_ne_u32_e32 vcc_lo, 0, v4
	v_bfe_u32 v15, v11, 20, 11
	v_lshrrev_b32_e32 v7, 16, v7
	v_sub_nc_u32_e32 v13, 0x3f1, v14
	v_lshrrev_b32_e32 v11, 16, v11
	s_wait_alu 0xfffd
	v_cndmask_b32_e64 v4, 0, 1, vcc_lo
	v_cmp_ne_u32_e32 vcc_lo, 0, v10
	v_sub_nc_u32_e32 v16, 0x3f1, v15
	v_add_nc_u32_e32 v15, 0xfffffc10, v15
	s_delay_alu instid0(VALU_DEP_4)
	v_and_or_b32 v6, 0xffe, v6, v4
	s_wait_alu 0xfffd
	v_cndmask_b32_e64 v10, 0, 1, vcc_lo
	v_med3_i32 v4, v13, 0, 13
	v_med3_i32 v16, v16, 0, 13
	v_or_b32_e32 v17, 0x1000, v6
	s_delay_alu instid0(VALU_DEP_4) | instskip(SKIP_1) | instid1(VALU_DEP_3)
	v_and_or_b32 v10, 0xffe, v12, v10
	v_mad_co_u64_u32 v[12:13], null, s4, v44, 0
	v_lshrrev_b32_e32 v19, v4, v17
	s_delay_alu instid0(VALU_DEP_3) | instskip(NEXT) | instid1(VALU_DEP_2)
	v_or_b32_e32 v18, 0x1000, v10
	v_lshlrev_b32_e32 v21, v4, v19
	s_delay_alu instid0(VALU_DEP_2) | instskip(SKIP_1) | instid1(VALU_DEP_3)
	v_lshrrev_b32_e32 v20, v16, v18
	v_mov_b32_e32 v4, v13
	v_cmp_ne_u32_e32 vcc_lo, v21, v17
	s_delay_alu instid0(VALU_DEP_3) | instskip(SKIP_3) | instid1(VALU_DEP_3)
	v_lshlrev_b32_e32 v13, v16, v20
	v_add_nc_u32_e32 v16, 0xfffffc10, v14
	s_wait_alu 0xfffd
	v_cndmask_b32_e64 v17, 0, 1, vcc_lo
	v_cmp_ne_u32_e32 vcc_lo, v13, v18
	v_mad_co_u64_u32 v[13:14], null, s5, v44, v[4:5]
	v_lshl_or_b32 v4, v16, 12, v6
	s_delay_alu instid0(VALU_DEP_4) | instskip(SKIP_4) | instid1(VALU_DEP_3)
	v_or_b32_e32 v14, v19, v17
	s_wait_alu 0xfffd
	v_cndmask_b32_e64 v18, 0, 1, vcc_lo
	v_cmp_gt_i32_e32 vcc_lo, 1, v16
	v_lshl_or_b32 v17, v15, 12, v10
	v_or_b32_e32 v18, v20, v18
	s_wait_alu 0xfffd
	v_cndmask_b32_e32 v4, v4, v14, vcc_lo
	v_cmp_gt_i32_e32 vcc_lo, 1, v15
	s_wait_alu 0xfffd
	v_cndmask_b32_e32 v14, v17, v18, vcc_lo
	v_cmp_ne_u32_e32 vcc_lo, 0, v6
	v_and_b32_e32 v17, 7, v4
	v_lshrrev_b32_e32 v4, 2, v4
	s_delay_alu instid0(VALU_DEP_4)
	v_and_b32_e32 v18, 7, v14
	s_wait_alu 0xfffd
	v_cndmask_b32_e64 v6, 0, 1, vcc_lo
	v_cmp_ne_u32_e32 vcc_lo, 0, v10
	v_cmp_eq_u32_e64 s0, 3, v17
	v_lshrrev_b32_e32 v14, 2, v14
	v_cmp_lt_i32_e64 s1, 5, v18
	v_cmp_eq_u32_e64 s2, 3, v18
	s_wait_alu 0xfffd
	v_cndmask_b32_e64 v10, 0, 1, vcc_lo
	v_cmp_lt_i32_e32 vcc_lo, 5, v17
	v_lshl_or_b32 v6, v6, 9, 0x7c00
	s_delay_alu instid0(VALU_DEP_3)
	v_lshl_or_b32 v10, v10, 9, 0x7c00
	s_or_b32 vcc_lo, s0, vcc_lo
	s_wait_alu 0xfffe
	v_add_co_ci_u32_e32 v4, vcc_lo, 0, v4, vcc_lo
	s_or_b32 vcc_lo, s2, s1
	s_wait_alu 0xfffe
	v_add_co_ci_u32_e32 v14, vcc_lo, 0, v14, vcc_lo
	v_cmp_gt_i32_e32 vcc_lo, 31, v16
	s_wait_alu 0xfffd
	v_cndmask_b32_e32 v4, 0x7c00, v4, vcc_lo
	v_cmp_gt_i32_e32 vcc_lo, 31, v15
	s_wait_alu 0xfffd
	v_cndmask_b32_e32 v14, 0x7c00, v14, vcc_lo
	v_cmp_eq_u32_e32 vcc_lo, 0x40f, v16
	s_wait_alu 0xfffd
	v_cndmask_b32_e32 v4, v4, v6, vcc_lo
	v_cmp_eq_u32_e32 vcc_lo, 0x40f, v15
	s_delay_alu instid0(VALU_DEP_2) | instskip(SKIP_3) | instid1(VALU_DEP_3)
	v_and_or_b32 v4, 0x8000, v7, v4
	s_wait_alu 0xfffd
	v_cndmask_b32_e32 v10, v14, v10, vcc_lo
	v_lshlrev_b64_e32 v[6:7], 2, v[12:13]
	v_and_b32_e32 v4, 0xffff, v4
	s_delay_alu instid0(VALU_DEP_3) | instskip(NEXT) | instid1(VALU_DEP_3)
	v_and_or_b32 v10, 0x8000, v11, v10
	v_add_co_u32 v6, vcc_lo, v2, v6
	s_wait_alu 0xfffd
	s_delay_alu instid0(VALU_DEP_4) | instskip(NEXT) | instid1(VALU_DEP_3)
	v_add_co_ci_u32_e32 v7, vcc_lo, v3, v7, vcc_lo
	v_lshl_or_b32 v4, v10, 16, v4
	global_store_b32 v[6:7], v4, off
	global_load_b32 v4, v[8:9], off offset:284
	v_lshrrev_b32_e32 v6, 16, v5
	s_wait_loadcnt 0x0
	v_lshrrev_b32_e32 v7, 16, v4
	s_delay_alu instid0(VALU_DEP_1) | instskip(SKIP_1) | instid1(VALU_DEP_2)
	v_mul_f16_e32 v10, v6, v7
	v_mul_f16_e32 v7, v5, v7
	v_fmac_f16_e32 v10, v5, v4
	s_delay_alu instid0(VALU_DEP_2) | instskip(NEXT) | instid1(VALU_DEP_2)
	v_fma_f16 v4, v4, v6, -v7
	v_cvt_f32_f16_e32 v5, v10
	s_delay_alu instid0(VALU_DEP_2) | instskip(NEXT) | instid1(VALU_DEP_2)
	v_cvt_f32_f16_e32 v6, v4
	v_cvt_f64_f32_e32 v[4:5], v5
	s_delay_alu instid0(VALU_DEP_2) | instskip(NEXT) | instid1(VALU_DEP_2)
	v_cvt_f64_f32_e32 v[6:7], v6
	v_mul_f64_e32 v[4:5], s[8:9], v[4:5]
	s_delay_alu instid0(VALU_DEP_2) | instskip(NEXT) | instid1(VALU_DEP_2)
	v_mul_f64_e32 v[6:7], s[8:9], v[6:7]
	v_and_or_b32 v4, 0x1ff, v5, v4
	s_delay_alu instid0(VALU_DEP_2)
	v_and_or_b32 v6, 0x1ff, v7, v6
	v_lshrrev_b32_e32 v10, 8, v5
	v_bfe_u32 v11, v5, 20, 11
	v_lshrrev_b32_e32 v12, 8, v7
	v_cmp_ne_u32_e32 vcc_lo, 0, v4
	v_bfe_u32 v13, v7, 20, 11
	v_lshrrev_b32_e32 v5, 16, v5
	v_sub_nc_u32_e32 v14, 0x3f1, v11
	v_add_nc_u32_e32 v11, 0xfffffc10, v11
	s_wait_alu 0xfffd
	v_cndmask_b32_e64 v4, 0, 1, vcc_lo
	v_cmp_ne_u32_e32 vcc_lo, 0, v6
	v_lshrrev_b32_e32 v7, 16, v7
	s_delay_alu instid0(VALU_DEP_3) | instskip(SKIP_4) | instid1(VALU_DEP_3)
	v_and_or_b32 v4, 0xffe, v10, v4
	s_wait_alu 0xfffd
	v_cndmask_b32_e64 v6, 0, 1, vcc_lo
	v_sub_nc_u32_e32 v10, 0x3f1, v13
	v_add_nc_u32_e32 v13, 0xfffffc10, v13
	v_and_or_b32 v6, 0xffe, v12, v6
	v_med3_i32 v12, v14, 0, 13
	v_or_b32_e32 v14, 0x1000, v4
	v_med3_i32 v10, v10, 0, 13
	s_delay_alu instid0(VALU_DEP_4) | instskip(NEXT) | instid1(VALU_DEP_3)
	v_or_b32_e32 v15, 0x1000, v6
	v_lshrrev_b32_e32 v16, v12, v14
	s_delay_alu instid0(VALU_DEP_2) | instskip(NEXT) | instid1(VALU_DEP_2)
	v_lshrrev_b32_e32 v17, v10, v15
	v_lshlrev_b32_e32 v12, v12, v16
	s_delay_alu instid0(VALU_DEP_2) | instskip(NEXT) | instid1(VALU_DEP_2)
	v_lshlrev_b32_e32 v10, v10, v17
	v_cmp_ne_u32_e32 vcc_lo, v12, v14
	v_lshl_or_b32 v14, v11, 12, v4
	s_wait_alu 0xfffd
	v_cndmask_b32_e64 v12, 0, 1, vcc_lo
	v_cmp_ne_u32_e32 vcc_lo, v10, v15
	v_lshl_or_b32 v15, v13, 12, v6
	s_delay_alu instid0(VALU_DEP_3) | instskip(SKIP_3) | instid1(VALU_DEP_2)
	v_or_b32_e32 v12, v16, v12
	s_wait_alu 0xfffd
	v_cndmask_b32_e64 v10, 0, 1, vcc_lo
	v_cmp_gt_i32_e32 vcc_lo, 1, v11
	v_or_b32_e32 v10, v17, v10
	s_wait_alu 0xfffd
	v_cndmask_b32_e32 v12, v14, v12, vcc_lo
	v_cmp_gt_i32_e32 vcc_lo, 1, v13
	s_delay_alu instid0(VALU_DEP_2)
	v_and_b32_e32 v14, 7, v12
	s_wait_alu 0xfffd
	v_cndmask_b32_e32 v10, v15, v10, vcc_lo
	v_cmp_ne_u32_e32 vcc_lo, 0, v4
	v_lshrrev_b32_e32 v12, 2, v12
	v_cmp_eq_u32_e64 s0, 3, v14
	s_delay_alu instid0(VALU_DEP_4)
	v_and_b32_e32 v15, 7, v10
	s_wait_alu 0xfffd
	v_cndmask_b32_e64 v4, 0, 1, vcc_lo
	v_cmp_ne_u32_e32 vcc_lo, 0, v6
	v_lshrrev_b32_e32 v10, 2, v10
	v_cmp_lt_i32_e64 s1, 5, v15
	v_cmp_eq_u32_e64 s2, 3, v15
	s_wait_alu 0xfffd
	v_cndmask_b32_e64 v6, 0, 1, vcc_lo
	v_cmp_lt_i32_e32 vcc_lo, 5, v14
	v_lshl_or_b32 v4, v4, 9, 0x7c00
	s_delay_alu instid0(VALU_DEP_3)
	v_lshl_or_b32 v6, v6, 9, 0x7c00
	s_or_b32 vcc_lo, s0, vcc_lo
	s_wait_alu 0xfffe
	v_add_co_ci_u32_e32 v12, vcc_lo, 0, v12, vcc_lo
	s_or_b32 vcc_lo, s2, s1
	s_wait_alu 0xfffe
	v_add_co_ci_u32_e32 v10, vcc_lo, 0, v10, vcc_lo
	v_cmp_gt_i32_e32 vcc_lo, 31, v11
	s_wait_alu 0xfffd
	v_cndmask_b32_e32 v12, 0x7c00, v12, vcc_lo
	v_cmp_gt_i32_e32 vcc_lo, 31, v13
	s_wait_alu 0xfffd
	v_cndmask_b32_e32 v10, 0x7c00, v10, vcc_lo
	v_cmp_eq_u32_e32 vcc_lo, 0x40f, v11
	s_wait_alu 0xfffd
	v_cndmask_b32_e32 v4, v12, v4, vcc_lo
	v_cmp_eq_u32_e32 vcc_lo, 0x40f, v13
	s_delay_alu instid0(VALU_DEP_2) | instskip(SKIP_2) | instid1(VALU_DEP_2)
	v_and_or_b32 v4, 0x8000, v5, v4
	s_wait_alu 0xfffd
	v_cndmask_b32_e32 v6, v10, v6, vcc_lo
	v_and_b32_e32 v4, 0xffff, v4
	s_delay_alu instid0(VALU_DEP_2) | instskip(NEXT) | instid1(VALU_DEP_1)
	v_and_or_b32 v5, 0x8000, v7, v6
	v_lshl_or_b32 v4, v5, 16, v4
	global_store_b32 v[0:1], v4, off
	global_load_b32 v6, v[8:9], off offset:344
	ds_load_2addr_b32 v[4:5], v42 offset0:86 offset1:101
	s_wait_dscnt 0x0
	v_lshrrev_b32_e32 v7, 16, v4
	s_wait_loadcnt 0x0
	v_lshrrev_b32_e32 v10, 16, v6
	s_delay_alu instid0(VALU_DEP_1) | instskip(SKIP_1) | instid1(VALU_DEP_2)
	v_mul_f16_e32 v11, v7, v10
	v_mul_f16_e32 v10, v4, v10
	v_fmac_f16_e32 v11, v4, v6
	s_delay_alu instid0(VALU_DEP_2) | instskip(NEXT) | instid1(VALU_DEP_2)
	v_fma_f16 v4, v6, v7, -v10
	v_cvt_f32_f16_e32 v6, v11
	s_delay_alu instid0(VALU_DEP_2) | instskip(NEXT) | instid1(VALU_DEP_2)
	v_cvt_f32_f16_e32 v4, v4
	v_cvt_f64_f32_e32 v[6:7], v6
	s_delay_alu instid0(VALU_DEP_2) | instskip(NEXT) | instid1(VALU_DEP_2)
	v_cvt_f64_f32_e32 v[10:11], v4
	v_mul_f64_e32 v[6:7], s[8:9], v[6:7]
	s_delay_alu instid0(VALU_DEP_2) | instskip(NEXT) | instid1(VALU_DEP_2)
	v_mul_f64_e32 v[10:11], s[8:9], v[10:11]
	v_and_or_b32 v4, 0x1ff, v7, v6
	s_delay_alu instid0(VALU_DEP_2)
	v_and_or_b32 v10, 0x1ff, v11, v10
	v_lshrrev_b32_e32 v6, 8, v7
	v_bfe_u32 v12, v7, 20, 11
	v_lshrrev_b32_e32 v13, 8, v11
	v_cmp_ne_u32_e32 vcc_lo, 0, v4
	v_bfe_u32 v14, v11, 20, 11
	v_lshrrev_b32_e32 v7, 16, v7
	v_sub_nc_u32_e32 v15, 0x3f1, v12
	v_add_nc_u32_e32 v12, 0xfffffc10, v12
	s_wait_alu 0xfffd
	v_cndmask_b32_e64 v4, 0, 1, vcc_lo
	v_cmp_ne_u32_e32 vcc_lo, 0, v10
	v_lshrrev_b32_e32 v11, 16, v11
	s_delay_alu instid0(VALU_DEP_3) | instskip(SKIP_4) | instid1(VALU_DEP_3)
	v_and_or_b32 v4, 0xffe, v6, v4
	s_wait_alu 0xfffd
	v_cndmask_b32_e64 v10, 0, 1, vcc_lo
	v_sub_nc_u32_e32 v6, 0x3f1, v14
	v_add_nc_u32_e32 v14, 0xfffffc10, v14
	v_and_or_b32 v10, 0xffe, v13, v10
	v_med3_i32 v13, v15, 0, 13
	v_or_b32_e32 v15, 0x1000, v4
	v_med3_i32 v6, v6, 0, 13
	s_delay_alu instid0(VALU_DEP_4) | instskip(NEXT) | instid1(VALU_DEP_3)
	v_or_b32_e32 v16, 0x1000, v10
	v_lshrrev_b32_e32 v17, v13, v15
	s_delay_alu instid0(VALU_DEP_2) | instskip(NEXT) | instid1(VALU_DEP_2)
	v_lshrrev_b32_e32 v18, v6, v16
	v_lshlrev_b32_e32 v13, v13, v17
	s_delay_alu instid0(VALU_DEP_2) | instskip(NEXT) | instid1(VALU_DEP_2)
	v_lshlrev_b32_e32 v6, v6, v18
	v_cmp_ne_u32_e32 vcc_lo, v13, v15
	v_lshl_or_b32 v15, v12, 12, v4
	s_wait_alu 0xfffd
	v_cndmask_b32_e64 v13, 0, 1, vcc_lo
	v_cmp_ne_u32_e32 vcc_lo, v6, v16
	v_lshl_or_b32 v16, v14, 12, v10
	s_delay_alu instid0(VALU_DEP_3) | instskip(SKIP_3) | instid1(VALU_DEP_2)
	v_or_b32_e32 v13, v17, v13
	s_wait_alu 0xfffd
	v_cndmask_b32_e64 v6, 0, 1, vcc_lo
	v_cmp_gt_i32_e32 vcc_lo, 1, v12
	v_or_b32_e32 v6, v18, v6
	s_wait_alu 0xfffd
	v_cndmask_b32_e32 v13, v15, v13, vcc_lo
	v_cmp_gt_i32_e32 vcc_lo, 1, v14
	s_wait_alu 0xfffd
	s_delay_alu instid0(VALU_DEP_2) | instskip(SKIP_2) | instid1(VALU_DEP_3)
	v_dual_cndmask_b32 v6, v16, v6 :: v_dual_and_b32 v15, 7, v13
	v_cmp_ne_u32_e32 vcc_lo, 0, v4
	v_lshrrev_b32_e32 v13, 2, v13
	v_cmp_eq_u32_e64 s0, 3, v15
	s_delay_alu instid0(VALU_DEP_4)
	v_and_b32_e32 v16, 7, v6
	s_wait_alu 0xfffd
	v_cndmask_b32_e64 v4, 0, 1, vcc_lo
	v_cmp_ne_u32_e32 vcc_lo, 0, v10
	v_lshrrev_b32_e32 v6, 2, v6
	v_cmp_lt_i32_e64 s1, 5, v16
	v_cmp_eq_u32_e64 s2, 3, v16
	s_wait_alu 0xfffd
	v_cndmask_b32_e64 v10, 0, 1, vcc_lo
	v_cmp_lt_i32_e32 vcc_lo, 5, v15
	v_lshl_or_b32 v4, v4, 9, 0x7c00
	s_delay_alu instid0(VALU_DEP_3)
	v_lshl_or_b32 v10, v10, 9, 0x7c00
	s_or_b32 vcc_lo, s0, vcc_lo
	s_wait_alu 0xfffe
	v_add_co_ci_u32_e32 v13, vcc_lo, 0, v13, vcc_lo
	s_or_b32 vcc_lo, s2, s1
	s_wait_alu 0xfffe
	v_add_co_ci_u32_e32 v6, vcc_lo, 0, v6, vcc_lo
	v_cmp_gt_i32_e32 vcc_lo, 31, v12
	s_wait_alu 0xfffd
	v_cndmask_b32_e32 v13, 0x7c00, v13, vcc_lo
	v_cmp_gt_i32_e32 vcc_lo, 31, v14
	s_wait_alu 0xfffd
	v_cndmask_b32_e32 v6, 0x7c00, v6, vcc_lo
	v_cmp_eq_u32_e32 vcc_lo, 0x40f, v12
	s_wait_alu 0xfffd
	v_cndmask_b32_e32 v4, v13, v4, vcc_lo
	v_cmp_eq_u32_e32 vcc_lo, 0x40f, v14
	s_delay_alu instid0(VALU_DEP_2)
	v_and_or_b32 v4, 0x8000, v7, v4
	s_wait_alu 0xfffd
	v_cndmask_b32_e32 v6, v6, v10, vcc_lo
	v_add_co_u32 v0, vcc_lo, v0, s6
	s_wait_alu 0xfffd
	v_add_co_ci_u32_e32 v1, vcc_lo, s7, v1, vcc_lo
	s_delay_alu instid0(VALU_DEP_3) | instskip(SKIP_1) | instid1(VALU_DEP_1)
	v_and_or_b32 v6, 0x8000, v11, v6
	v_and_b32_e32 v4, 0xffff, v4
	v_lshl_or_b32 v4, v6, 16, v4
	v_lshrrev_b32_e32 v6, 16, v5
	global_store_b32 v[0:1], v4, off
	global_load_b32 v4, v[8:9], off offset:404
	s_wait_loadcnt 0x0
	v_lshrrev_b32_e32 v7, 16, v4
	s_delay_alu instid0(VALU_DEP_1) | instskip(SKIP_1) | instid1(VALU_DEP_2)
	v_mul_f16_e32 v10, v6, v7
	v_mul_f16_e32 v7, v5, v7
	v_fmac_f16_e32 v10, v5, v4
	s_delay_alu instid0(VALU_DEP_2) | instskip(NEXT) | instid1(VALU_DEP_2)
	v_fma_f16 v4, v4, v6, -v7
	v_cvt_f32_f16_e32 v5, v10
	s_delay_alu instid0(VALU_DEP_2) | instskip(NEXT) | instid1(VALU_DEP_2)
	v_cvt_f32_f16_e32 v6, v4
	v_cvt_f64_f32_e32 v[4:5], v5
	s_delay_alu instid0(VALU_DEP_2) | instskip(NEXT) | instid1(VALU_DEP_2)
	v_cvt_f64_f32_e32 v[6:7], v6
	v_mul_f64_e32 v[4:5], s[8:9], v[4:5]
	s_delay_alu instid0(VALU_DEP_2) | instskip(NEXT) | instid1(VALU_DEP_2)
	v_mul_f64_e32 v[6:7], s[8:9], v[6:7]
	v_and_or_b32 v4, 0x1ff, v5, v4
	s_delay_alu instid0(VALU_DEP_2)
	v_and_or_b32 v6, 0x1ff, v7, v6
	v_lshrrev_b32_e32 v10, 8, v5
	v_bfe_u32 v11, v5, 20, 11
	v_lshrrev_b32_e32 v12, 8, v7
	v_cmp_ne_u32_e32 vcc_lo, 0, v4
	v_bfe_u32 v13, v7, 20, 11
	v_lshrrev_b32_e32 v5, 16, v5
	v_sub_nc_u32_e32 v14, 0x3f1, v11
	v_add_nc_u32_e32 v11, 0xfffffc10, v11
	s_wait_alu 0xfffd
	v_cndmask_b32_e64 v4, 0, 1, vcc_lo
	v_cmp_ne_u32_e32 vcc_lo, 0, v6
	v_lshrrev_b32_e32 v7, 16, v7
	s_delay_alu instid0(VALU_DEP_3) | instskip(SKIP_4) | instid1(VALU_DEP_3)
	v_and_or_b32 v4, 0xffe, v10, v4
	s_wait_alu 0xfffd
	v_cndmask_b32_e64 v6, 0, 1, vcc_lo
	v_sub_nc_u32_e32 v10, 0x3f1, v13
	v_add_nc_u32_e32 v13, 0xfffffc10, v13
	v_and_or_b32 v6, 0xffe, v12, v6
	v_med3_i32 v12, v14, 0, 13
	v_or_b32_e32 v14, 0x1000, v4
	v_med3_i32 v10, v10, 0, 13
	s_delay_alu instid0(VALU_DEP_4) | instskip(NEXT) | instid1(VALU_DEP_3)
	v_or_b32_e32 v15, 0x1000, v6
	v_lshrrev_b32_e32 v16, v12, v14
	s_delay_alu instid0(VALU_DEP_2) | instskip(NEXT) | instid1(VALU_DEP_2)
	v_lshrrev_b32_e32 v17, v10, v15
	v_lshlrev_b32_e32 v12, v12, v16
	s_delay_alu instid0(VALU_DEP_2) | instskip(NEXT) | instid1(VALU_DEP_2)
	v_lshlrev_b32_e32 v10, v10, v17
	v_cmp_ne_u32_e32 vcc_lo, v12, v14
	v_lshl_or_b32 v14, v11, 12, v4
	s_wait_alu 0xfffd
	v_cndmask_b32_e64 v12, 0, 1, vcc_lo
	v_cmp_ne_u32_e32 vcc_lo, v10, v15
	v_lshl_or_b32 v15, v13, 12, v6
	s_delay_alu instid0(VALU_DEP_3) | instskip(SKIP_3) | instid1(VALU_DEP_2)
	v_or_b32_e32 v12, v16, v12
	s_wait_alu 0xfffd
	v_cndmask_b32_e64 v10, 0, 1, vcc_lo
	v_cmp_gt_i32_e32 vcc_lo, 1, v11
	v_or_b32_e32 v10, v17, v10
	s_wait_alu 0xfffd
	v_cndmask_b32_e32 v12, v14, v12, vcc_lo
	v_cmp_gt_i32_e32 vcc_lo, 1, v13
	s_delay_alu instid0(VALU_DEP_2)
	v_and_b32_e32 v14, 7, v12
	s_wait_alu 0xfffd
	v_cndmask_b32_e32 v10, v15, v10, vcc_lo
	v_cmp_ne_u32_e32 vcc_lo, 0, v4
	v_lshrrev_b32_e32 v12, 2, v12
	v_cmp_eq_u32_e64 s0, 3, v14
	s_delay_alu instid0(VALU_DEP_4)
	v_and_b32_e32 v15, 7, v10
	s_wait_alu 0xfffd
	v_cndmask_b32_e64 v4, 0, 1, vcc_lo
	v_cmp_ne_u32_e32 vcc_lo, 0, v6
	v_lshrrev_b32_e32 v10, 2, v10
	v_cmp_lt_i32_e64 s1, 5, v15
	v_cmp_eq_u32_e64 s2, 3, v15
	s_wait_alu 0xfffd
	v_cndmask_b32_e64 v6, 0, 1, vcc_lo
	v_cmp_lt_i32_e32 vcc_lo, 5, v14
	v_lshl_or_b32 v4, v4, 9, 0x7c00
	s_delay_alu instid0(VALU_DEP_3)
	v_lshl_or_b32 v6, v6, 9, 0x7c00
	s_or_b32 vcc_lo, s0, vcc_lo
	s_wait_alu 0xfffe
	v_add_co_ci_u32_e32 v12, vcc_lo, 0, v12, vcc_lo
	s_or_b32 vcc_lo, s2, s1
	s_wait_alu 0xfffe
	v_add_co_ci_u32_e32 v10, vcc_lo, 0, v10, vcc_lo
	v_cmp_gt_i32_e32 vcc_lo, 31, v11
	s_wait_alu 0xfffd
	v_cndmask_b32_e32 v12, 0x7c00, v12, vcc_lo
	v_cmp_gt_i32_e32 vcc_lo, 31, v13
	s_wait_alu 0xfffd
	v_cndmask_b32_e32 v10, 0x7c00, v10, vcc_lo
	v_cmp_eq_u32_e32 vcc_lo, 0x40f, v11
	s_wait_alu 0xfffd
	v_cndmask_b32_e32 v4, v12, v4, vcc_lo
	v_cmp_eq_u32_e32 vcc_lo, 0x40f, v13
	s_delay_alu instid0(VALU_DEP_2)
	v_and_or_b32 v4, 0x8000, v5, v4
	s_wait_alu 0xfffd
	v_cndmask_b32_e32 v6, v10, v6, vcc_lo
	v_add_co_u32 v0, vcc_lo, v0, s6
	s_wait_alu 0xfffd
	v_add_co_ci_u32_e32 v1, vcc_lo, s7, v1, vcc_lo
	s_delay_alu instid0(VALU_DEP_3) | instskip(SKIP_1) | instid1(VALU_DEP_1)
	v_and_or_b32 v5, 0x8000, v7, v6
	v_and_b32_e32 v4, 0xffff, v4
	v_lshl_or_b32 v4, v5, 16, v4
	global_store_b32 v[0:1], v4, off
	global_load_b32 v6, v[8:9], off offset:464
	ds_load_2addr_b32 v[4:5], v42 offset0:116 offset1:131
	v_mad_co_u64_u32 v[0:1], null, 0x78, s4, v[0:1]
	s_delay_alu instid0(VALU_DEP_1) | instskip(SKIP_4) | instid1(VALU_DEP_1)
	v_add_nc_u32_e32 v1, s3, v1
	s_wait_dscnt 0x0
	v_lshrrev_b32_e32 v7, 16, v4
	s_wait_loadcnt 0x0
	v_lshrrev_b32_e32 v10, 16, v6
	v_mul_f16_e32 v11, v7, v10
	v_mul_f16_e32 v10, v4, v10
	s_delay_alu instid0(VALU_DEP_2) | instskip(NEXT) | instid1(VALU_DEP_2)
	v_fmac_f16_e32 v11, v4, v6
	v_fma_f16 v4, v6, v7, -v10
	s_delay_alu instid0(VALU_DEP_2) | instskip(NEXT) | instid1(VALU_DEP_2)
	v_cvt_f32_f16_e32 v6, v11
	v_cvt_f32_f16_e32 v4, v4
	s_delay_alu instid0(VALU_DEP_2) | instskip(NEXT) | instid1(VALU_DEP_2)
	v_cvt_f64_f32_e32 v[6:7], v6
	v_cvt_f64_f32_e32 v[10:11], v4
	s_delay_alu instid0(VALU_DEP_2) | instskip(NEXT) | instid1(VALU_DEP_2)
	v_mul_f64_e32 v[6:7], s[8:9], v[6:7]
	v_mul_f64_e32 v[10:11], s[8:9], v[10:11]
	s_delay_alu instid0(VALU_DEP_2) | instskip(NEXT) | instid1(VALU_DEP_2)
	v_and_or_b32 v4, 0x1ff, v7, v6
	v_and_or_b32 v10, 0x1ff, v11, v10
	v_lshrrev_b32_e32 v6, 8, v7
	v_bfe_u32 v14, v7, 20, 11
	v_lshrrev_b32_e32 v12, 8, v11
	v_cmp_ne_u32_e32 vcc_lo, 0, v4
	v_bfe_u32 v15, v11, 20, 11
	v_lshrrev_b32_e32 v7, 16, v7
	v_sub_nc_u32_e32 v13, 0x3f1, v14
	v_lshrrev_b32_e32 v11, 16, v11
	s_wait_alu 0xfffd
	v_cndmask_b32_e64 v4, 0, 1, vcc_lo
	v_cmp_ne_u32_e32 vcc_lo, 0, v10
	v_sub_nc_u32_e32 v16, 0x3f1, v15
	v_add_nc_u32_e32 v15, 0xfffffc10, v15
	s_delay_alu instid0(VALU_DEP_4)
	v_and_or_b32 v6, 0xffe, v6, v4
	s_wait_alu 0xfffd
	v_cndmask_b32_e64 v10, 0, 1, vcc_lo
	v_med3_i32 v4, v13, 0, 13
	v_med3_i32 v16, v16, 0, 13
	v_or_b32_e32 v17, 0x1000, v6
	s_delay_alu instid0(VALU_DEP_4) | instskip(SKIP_1) | instid1(VALU_DEP_3)
	v_and_or_b32 v10, 0xffe, v12, v10
	v_mad_co_u64_u32 v[12:13], null, s4, v43, 0
	v_lshrrev_b32_e32 v19, v4, v17
	s_delay_alu instid0(VALU_DEP_3) | instskip(NEXT) | instid1(VALU_DEP_2)
	v_or_b32_e32 v18, 0x1000, v10
	v_lshlrev_b32_e32 v21, v4, v19
	s_delay_alu instid0(VALU_DEP_2) | instskip(SKIP_1) | instid1(VALU_DEP_3)
	v_lshrrev_b32_e32 v20, v16, v18
	v_mov_b32_e32 v4, v13
	v_cmp_ne_u32_e32 vcc_lo, v21, v17
	s_delay_alu instid0(VALU_DEP_3) | instskip(SKIP_3) | instid1(VALU_DEP_3)
	v_lshlrev_b32_e32 v13, v16, v20
	v_add_nc_u32_e32 v16, 0xfffffc10, v14
	s_wait_alu 0xfffd
	v_cndmask_b32_e64 v17, 0, 1, vcc_lo
	v_cmp_ne_u32_e32 vcc_lo, v13, v18
	v_mad_co_u64_u32 v[13:14], null, s5, v43, v[4:5]
	v_lshl_or_b32 v4, v16, 12, v6
	s_delay_alu instid0(VALU_DEP_4) | instskip(SKIP_4) | instid1(VALU_DEP_3)
	v_or_b32_e32 v14, v19, v17
	s_wait_alu 0xfffd
	v_cndmask_b32_e64 v18, 0, 1, vcc_lo
	v_cmp_gt_i32_e32 vcc_lo, 1, v16
	v_lshl_or_b32 v17, v15, 12, v10
	v_or_b32_e32 v18, v20, v18
	s_wait_alu 0xfffd
	v_cndmask_b32_e32 v4, v4, v14, vcc_lo
	v_cmp_gt_i32_e32 vcc_lo, 1, v15
	s_wait_alu 0xfffd
	v_cndmask_b32_e32 v14, v17, v18, vcc_lo
	v_cmp_ne_u32_e32 vcc_lo, 0, v6
	v_and_b32_e32 v17, 7, v4
	v_lshrrev_b32_e32 v4, 2, v4
	s_delay_alu instid0(VALU_DEP_4)
	v_and_b32_e32 v18, 7, v14
	s_wait_alu 0xfffd
	v_cndmask_b32_e64 v6, 0, 1, vcc_lo
	v_cmp_ne_u32_e32 vcc_lo, 0, v10
	v_cmp_eq_u32_e64 s0, 3, v17
	v_lshrrev_b32_e32 v14, 2, v14
	v_cmp_lt_i32_e64 s1, 5, v18
	v_cmp_eq_u32_e64 s2, 3, v18
	s_wait_alu 0xfffd
	v_cndmask_b32_e64 v10, 0, 1, vcc_lo
	v_cmp_lt_i32_e32 vcc_lo, 5, v17
	v_lshl_or_b32 v6, v6, 9, 0x7c00
	s_delay_alu instid0(VALU_DEP_3)
	v_lshl_or_b32 v10, v10, 9, 0x7c00
	s_or_b32 vcc_lo, s0, vcc_lo
	s_wait_alu 0xfffe
	v_add_co_ci_u32_e32 v4, vcc_lo, 0, v4, vcc_lo
	s_or_b32 vcc_lo, s2, s1
	s_wait_alu 0xfffe
	v_add_co_ci_u32_e32 v14, vcc_lo, 0, v14, vcc_lo
	v_cmp_gt_i32_e32 vcc_lo, 31, v16
	s_wait_alu 0xfffd
	v_cndmask_b32_e32 v4, 0x7c00, v4, vcc_lo
	v_cmp_gt_i32_e32 vcc_lo, 31, v15
	s_wait_alu 0xfffd
	v_cndmask_b32_e32 v14, 0x7c00, v14, vcc_lo
	v_cmp_eq_u32_e32 vcc_lo, 0x40f, v16
	s_wait_alu 0xfffd
	v_cndmask_b32_e32 v4, v4, v6, vcc_lo
	v_cmp_eq_u32_e32 vcc_lo, 0x40f, v15
	s_delay_alu instid0(VALU_DEP_2) | instskip(SKIP_3) | instid1(VALU_DEP_3)
	v_and_or_b32 v4, 0x8000, v7, v4
	s_wait_alu 0xfffd
	v_cndmask_b32_e32 v10, v14, v10, vcc_lo
	v_lshlrev_b64_e32 v[6:7], 2, v[12:13]
	v_and_b32_e32 v4, 0xffff, v4
	s_delay_alu instid0(VALU_DEP_3) | instskip(NEXT) | instid1(VALU_DEP_3)
	v_and_or_b32 v10, 0x8000, v11, v10
	v_add_co_u32 v2, vcc_lo, v2, v6
	s_wait_alu 0xfffd
	s_delay_alu instid0(VALU_DEP_4) | instskip(NEXT) | instid1(VALU_DEP_3)
	v_add_co_ci_u32_e32 v3, vcc_lo, v3, v7, vcc_lo
	v_lshl_or_b32 v4, v10, 16, v4
	global_store_b32 v[2:3], v4, off
	global_load_b32 v2, v[8:9], off offset:524
	v_lshrrev_b32_e32 v3, 16, v5
	s_wait_loadcnt 0x0
	v_lshrrev_b32_e32 v4, 16, v2
	s_delay_alu instid0(VALU_DEP_1) | instskip(SKIP_1) | instid1(VALU_DEP_2)
	v_mul_f16_e32 v6, v3, v4
	v_mul_f16_e32 v4, v5, v4
	v_fmac_f16_e32 v6, v5, v2
	s_delay_alu instid0(VALU_DEP_2) | instskip(NEXT) | instid1(VALU_DEP_2)
	v_fma_f16 v2, v2, v3, -v4
	v_cvt_f32_f16_e32 v3, v6
	s_delay_alu instid0(VALU_DEP_2) | instskip(NEXT) | instid1(VALU_DEP_2)
	v_cvt_f32_f16_e32 v4, v2
	v_cvt_f64_f32_e32 v[2:3], v3
	s_delay_alu instid0(VALU_DEP_2) | instskip(NEXT) | instid1(VALU_DEP_2)
	v_cvt_f64_f32_e32 v[4:5], v4
	v_mul_f64_e32 v[2:3], s[8:9], v[2:3]
	s_delay_alu instid0(VALU_DEP_2) | instskip(NEXT) | instid1(VALU_DEP_2)
	v_mul_f64_e32 v[4:5], s[8:9], v[4:5]
	v_and_or_b32 v2, 0x1ff, v3, v2
	s_delay_alu instid0(VALU_DEP_2)
	v_and_or_b32 v4, 0x1ff, v5, v4
	v_lshrrev_b32_e32 v6, 8, v3
	v_bfe_u32 v7, v3, 20, 11
	v_lshrrev_b32_e32 v10, 8, v5
	v_cmp_ne_u32_e32 vcc_lo, 0, v2
	v_bfe_u32 v11, v5, 20, 11
	v_lshrrev_b32_e32 v3, 16, v3
	v_sub_nc_u32_e32 v12, 0x3f1, v7
	v_add_nc_u32_e32 v7, 0xfffffc10, v7
	s_wait_alu 0xfffd
	v_cndmask_b32_e64 v2, 0, 1, vcc_lo
	v_cmp_ne_u32_e32 vcc_lo, 0, v4
	v_lshrrev_b32_e32 v5, 16, v5
	s_delay_alu instid0(VALU_DEP_3) | instskip(SKIP_4) | instid1(VALU_DEP_3)
	v_and_or_b32 v2, 0xffe, v6, v2
	s_wait_alu 0xfffd
	v_cndmask_b32_e64 v4, 0, 1, vcc_lo
	v_sub_nc_u32_e32 v6, 0x3f1, v11
	v_add_nc_u32_e32 v11, 0xfffffc10, v11
	v_and_or_b32 v4, 0xffe, v10, v4
	v_med3_i32 v10, v12, 0, 13
	v_or_b32_e32 v12, 0x1000, v2
	v_med3_i32 v6, v6, 0, 13
	s_delay_alu instid0(VALU_DEP_4) | instskip(NEXT) | instid1(VALU_DEP_3)
	v_or_b32_e32 v13, 0x1000, v4
	v_lshrrev_b32_e32 v14, v10, v12
	s_delay_alu instid0(VALU_DEP_2) | instskip(NEXT) | instid1(VALU_DEP_2)
	v_lshrrev_b32_e32 v15, v6, v13
	v_lshlrev_b32_e32 v10, v10, v14
	s_delay_alu instid0(VALU_DEP_2) | instskip(NEXT) | instid1(VALU_DEP_2)
	v_lshlrev_b32_e32 v6, v6, v15
	v_cmp_ne_u32_e32 vcc_lo, v10, v12
	v_lshl_or_b32 v12, v7, 12, v2
	s_wait_alu 0xfffd
	v_cndmask_b32_e64 v10, 0, 1, vcc_lo
	v_cmp_ne_u32_e32 vcc_lo, v6, v13
	v_lshl_or_b32 v13, v11, 12, v4
	s_delay_alu instid0(VALU_DEP_3) | instskip(SKIP_3) | instid1(VALU_DEP_2)
	v_or_b32_e32 v10, v14, v10
	s_wait_alu 0xfffd
	v_cndmask_b32_e64 v6, 0, 1, vcc_lo
	v_cmp_gt_i32_e32 vcc_lo, 1, v7
	v_or_b32_e32 v6, v15, v6
	s_wait_alu 0xfffd
	v_cndmask_b32_e32 v10, v12, v10, vcc_lo
	v_cmp_gt_i32_e32 vcc_lo, 1, v11
	s_delay_alu instid0(VALU_DEP_2)
	v_and_b32_e32 v12, 7, v10
	s_wait_alu 0xfffd
	v_cndmask_b32_e32 v6, v13, v6, vcc_lo
	v_cmp_ne_u32_e32 vcc_lo, 0, v2
	v_lshrrev_b32_e32 v10, 2, v10
	v_cmp_eq_u32_e64 s0, 3, v12
	s_delay_alu instid0(VALU_DEP_4)
	v_and_b32_e32 v13, 7, v6
	s_wait_alu 0xfffd
	v_cndmask_b32_e64 v2, 0, 1, vcc_lo
	v_cmp_ne_u32_e32 vcc_lo, 0, v4
	v_lshrrev_b32_e32 v6, 2, v6
	v_cmp_lt_i32_e64 s1, 5, v13
	v_cmp_eq_u32_e64 s2, 3, v13
	s_wait_alu 0xfffd
	v_cndmask_b32_e64 v4, 0, 1, vcc_lo
	v_cmp_lt_i32_e32 vcc_lo, 5, v12
	v_lshl_or_b32 v2, v2, 9, 0x7c00
	s_delay_alu instid0(VALU_DEP_3)
	v_lshl_or_b32 v4, v4, 9, 0x7c00
	s_or_b32 vcc_lo, s0, vcc_lo
	s_wait_alu 0xfffe
	v_add_co_ci_u32_e32 v10, vcc_lo, 0, v10, vcc_lo
	s_or_b32 vcc_lo, s2, s1
	s_wait_alu 0xfffe
	v_add_co_ci_u32_e32 v6, vcc_lo, 0, v6, vcc_lo
	v_cmp_gt_i32_e32 vcc_lo, 31, v7
	s_wait_alu 0xfffd
	v_cndmask_b32_e32 v10, 0x7c00, v10, vcc_lo
	v_cmp_gt_i32_e32 vcc_lo, 31, v11
	s_wait_alu 0xfffd
	v_cndmask_b32_e32 v6, 0x7c00, v6, vcc_lo
	v_cmp_eq_u32_e32 vcc_lo, 0x40f, v7
	s_wait_alu 0xfffd
	v_cndmask_b32_e32 v2, v10, v2, vcc_lo
	v_cmp_eq_u32_e32 vcc_lo, 0x40f, v11
	s_delay_alu instid0(VALU_DEP_2) | instskip(SKIP_2) | instid1(VALU_DEP_2)
	v_and_or_b32 v2, 0x8000, v3, v2
	s_wait_alu 0xfffd
	v_cndmask_b32_e32 v4, v6, v4, vcc_lo
	v_and_b32_e32 v2, 0xffff, v2
	s_delay_alu instid0(VALU_DEP_2) | instskip(NEXT) | instid1(VALU_DEP_1)
	v_and_or_b32 v3, 0x8000, v5, v4
	v_lshl_or_b32 v2, v3, 16, v2
	global_store_b32 v[0:1], v2, off
	global_load_b32 v4, v[8:9], off offset:584
	ds_load_2addr_b32 v[2:3], v42 offset0:146 offset1:161
	s_wait_dscnt 0x0
	v_lshrrev_b32_e32 v5, 16, v2
	s_wait_loadcnt 0x0
	v_lshrrev_b32_e32 v6, 16, v4
	s_delay_alu instid0(VALU_DEP_1) | instskip(SKIP_1) | instid1(VALU_DEP_2)
	v_mul_f16_e32 v7, v5, v6
	v_mul_f16_e32 v6, v2, v6
	v_fmac_f16_e32 v7, v2, v4
	s_delay_alu instid0(VALU_DEP_2) | instskip(NEXT) | instid1(VALU_DEP_2)
	v_fma_f16 v2, v4, v5, -v6
	v_cvt_f32_f16_e32 v4, v7
	s_delay_alu instid0(VALU_DEP_2) | instskip(NEXT) | instid1(VALU_DEP_2)
	v_cvt_f32_f16_e32 v2, v2
	v_cvt_f64_f32_e32 v[4:5], v4
	s_delay_alu instid0(VALU_DEP_2) | instskip(NEXT) | instid1(VALU_DEP_2)
	v_cvt_f64_f32_e32 v[6:7], v2
	v_mul_f64_e32 v[4:5], s[8:9], v[4:5]
	s_delay_alu instid0(VALU_DEP_2) | instskip(NEXT) | instid1(VALU_DEP_2)
	v_mul_f64_e32 v[6:7], s[8:9], v[6:7]
	v_and_or_b32 v2, 0x1ff, v5, v4
	s_delay_alu instid0(VALU_DEP_2)
	v_and_or_b32 v6, 0x1ff, v7, v6
	v_lshrrev_b32_e32 v4, 8, v5
	v_bfe_u32 v10, v5, 20, 11
	v_lshrrev_b32_e32 v11, 8, v7
	v_cmp_ne_u32_e32 vcc_lo, 0, v2
	v_bfe_u32 v12, v7, 20, 11
	v_lshrrev_b32_e32 v5, 16, v5
	v_sub_nc_u32_e32 v13, 0x3f1, v10
	v_add_nc_u32_e32 v10, 0xfffffc10, v10
	s_wait_alu 0xfffd
	v_cndmask_b32_e64 v2, 0, 1, vcc_lo
	v_cmp_ne_u32_e32 vcc_lo, 0, v6
	v_lshrrev_b32_e32 v7, 16, v7
	s_delay_alu instid0(VALU_DEP_3) | instskip(SKIP_4) | instid1(VALU_DEP_3)
	v_and_or_b32 v2, 0xffe, v4, v2
	s_wait_alu 0xfffd
	v_cndmask_b32_e64 v6, 0, 1, vcc_lo
	v_sub_nc_u32_e32 v4, 0x3f1, v12
	v_add_nc_u32_e32 v12, 0xfffffc10, v12
	v_and_or_b32 v6, 0xffe, v11, v6
	v_med3_i32 v11, v13, 0, 13
	v_or_b32_e32 v13, 0x1000, v2
	v_med3_i32 v4, v4, 0, 13
	s_delay_alu instid0(VALU_DEP_4) | instskip(NEXT) | instid1(VALU_DEP_3)
	v_or_b32_e32 v14, 0x1000, v6
	v_lshrrev_b32_e32 v15, v11, v13
	s_delay_alu instid0(VALU_DEP_2) | instskip(NEXT) | instid1(VALU_DEP_2)
	v_lshrrev_b32_e32 v16, v4, v14
	v_lshlrev_b32_e32 v11, v11, v15
	s_delay_alu instid0(VALU_DEP_2) | instskip(NEXT) | instid1(VALU_DEP_2)
	v_lshlrev_b32_e32 v4, v4, v16
	v_cmp_ne_u32_e32 vcc_lo, v11, v13
	v_lshl_or_b32 v13, v10, 12, v2
	s_wait_alu 0xfffd
	v_cndmask_b32_e64 v11, 0, 1, vcc_lo
	v_cmp_ne_u32_e32 vcc_lo, v4, v14
	v_lshl_or_b32 v14, v12, 12, v6
	s_delay_alu instid0(VALU_DEP_3) | instskip(SKIP_3) | instid1(VALU_DEP_2)
	v_or_b32_e32 v11, v15, v11
	s_wait_alu 0xfffd
	v_cndmask_b32_e64 v4, 0, 1, vcc_lo
	v_cmp_gt_i32_e32 vcc_lo, 1, v10
	v_or_b32_e32 v4, v16, v4
	s_wait_alu 0xfffd
	v_cndmask_b32_e32 v11, v13, v11, vcc_lo
	v_cmp_gt_i32_e32 vcc_lo, 1, v12
	s_wait_alu 0xfffd
	s_delay_alu instid0(VALU_DEP_2) | instskip(SKIP_2) | instid1(VALU_DEP_3)
	v_dual_cndmask_b32 v4, v14, v4 :: v_dual_and_b32 v13, 7, v11
	v_cmp_ne_u32_e32 vcc_lo, 0, v2
	v_lshrrev_b32_e32 v11, 2, v11
	v_cmp_eq_u32_e64 s0, 3, v13
	s_delay_alu instid0(VALU_DEP_4)
	v_and_b32_e32 v14, 7, v4
	s_wait_alu 0xfffd
	v_cndmask_b32_e64 v2, 0, 1, vcc_lo
	v_cmp_ne_u32_e32 vcc_lo, 0, v6
	v_lshrrev_b32_e32 v4, 2, v4
	v_cmp_lt_i32_e64 s1, 5, v14
	v_cmp_eq_u32_e64 s2, 3, v14
	s_wait_alu 0xfffd
	v_cndmask_b32_e64 v6, 0, 1, vcc_lo
	v_cmp_lt_i32_e32 vcc_lo, 5, v13
	v_lshl_or_b32 v2, v2, 9, 0x7c00
	s_delay_alu instid0(VALU_DEP_3)
	v_lshl_or_b32 v6, v6, 9, 0x7c00
	s_or_b32 vcc_lo, s0, vcc_lo
	s_wait_alu 0xfffe
	v_add_co_ci_u32_e32 v11, vcc_lo, 0, v11, vcc_lo
	s_or_b32 vcc_lo, s2, s1
	s_wait_alu 0xfffe
	v_add_co_ci_u32_e32 v4, vcc_lo, 0, v4, vcc_lo
	v_cmp_gt_i32_e32 vcc_lo, 31, v10
	s_wait_alu 0xfffd
	v_cndmask_b32_e32 v11, 0x7c00, v11, vcc_lo
	v_cmp_gt_i32_e32 vcc_lo, 31, v12
	s_wait_alu 0xfffd
	v_cndmask_b32_e32 v4, 0x7c00, v4, vcc_lo
	v_cmp_eq_u32_e32 vcc_lo, 0x40f, v10
	s_wait_alu 0xfffd
	v_cndmask_b32_e32 v2, v11, v2, vcc_lo
	v_cmp_eq_u32_e32 vcc_lo, 0x40f, v12
	s_delay_alu instid0(VALU_DEP_2)
	v_and_or_b32 v2, 0x8000, v5, v2
	s_wait_alu 0xfffd
	v_cndmask_b32_e32 v4, v4, v6, vcc_lo
	v_add_co_u32 v0, vcc_lo, v0, s6
	s_wait_alu 0xfffd
	v_add_co_ci_u32_e32 v1, vcc_lo, s7, v1, vcc_lo
	s_delay_alu instid0(VALU_DEP_3) | instskip(SKIP_1) | instid1(VALU_DEP_1)
	v_and_or_b32 v4, 0x8000, v7, v4
	v_and_b32_e32 v2, 0xffff, v2
	v_lshl_or_b32 v2, v4, 16, v2
	v_lshrrev_b32_e32 v4, 16, v3
	global_store_b32 v[0:1], v2, off
	global_load_b32 v2, v[8:9], off offset:644
	s_wait_loadcnt 0x0
	v_lshrrev_b32_e32 v5, 16, v2
	s_delay_alu instid0(VALU_DEP_1) | instskip(SKIP_1) | instid1(VALU_DEP_2)
	v_mul_f16_e32 v6, v4, v5
	v_mul_f16_e32 v5, v3, v5
	v_fmac_f16_e32 v6, v3, v2
	s_delay_alu instid0(VALU_DEP_2) | instskip(NEXT) | instid1(VALU_DEP_2)
	v_fma_f16 v2, v2, v4, -v5
	v_cvt_f32_f16_e32 v3, v6
	s_delay_alu instid0(VALU_DEP_2) | instskip(NEXT) | instid1(VALU_DEP_2)
	v_cvt_f32_f16_e32 v4, v2
	v_cvt_f64_f32_e32 v[2:3], v3
	s_delay_alu instid0(VALU_DEP_2) | instskip(NEXT) | instid1(VALU_DEP_2)
	v_cvt_f64_f32_e32 v[4:5], v4
	v_mul_f64_e32 v[2:3], s[8:9], v[2:3]
	s_delay_alu instid0(VALU_DEP_2) | instskip(NEXT) | instid1(VALU_DEP_2)
	v_mul_f64_e32 v[4:5], s[8:9], v[4:5]
	v_and_or_b32 v2, 0x1ff, v3, v2
	s_delay_alu instid0(VALU_DEP_2)
	v_and_or_b32 v4, 0x1ff, v5, v4
	v_lshrrev_b32_e32 v6, 8, v3
	v_bfe_u32 v7, v3, 20, 11
	v_lshrrev_b32_e32 v8, 8, v5
	v_cmp_ne_u32_e32 vcc_lo, 0, v2
	v_bfe_u32 v9, v5, 20, 11
	v_lshrrev_b32_e32 v3, 16, v3
	v_sub_nc_u32_e32 v10, 0x3f1, v7
	v_add_nc_u32_e32 v7, 0xfffffc10, v7
	s_wait_alu 0xfffd
	v_cndmask_b32_e64 v2, 0, 1, vcc_lo
	v_cmp_ne_u32_e32 vcc_lo, 0, v4
	v_lshrrev_b32_e32 v5, 16, v5
	s_delay_alu instid0(VALU_DEP_3) | instskip(SKIP_4) | instid1(VALU_DEP_3)
	v_and_or_b32 v2, 0xffe, v6, v2
	s_wait_alu 0xfffd
	v_cndmask_b32_e64 v4, 0, 1, vcc_lo
	v_sub_nc_u32_e32 v6, 0x3f1, v9
	v_add_nc_u32_e32 v9, 0xfffffc10, v9
	v_and_or_b32 v4, 0xffe, v8, v4
	v_med3_i32 v8, v10, 0, 13
	v_or_b32_e32 v10, 0x1000, v2
	v_med3_i32 v6, v6, 0, 13
	s_delay_alu instid0(VALU_DEP_4) | instskip(NEXT) | instid1(VALU_DEP_3)
	v_or_b32_e32 v11, 0x1000, v4
	v_lshrrev_b32_e32 v12, v8, v10
	s_delay_alu instid0(VALU_DEP_2) | instskip(NEXT) | instid1(VALU_DEP_2)
	v_lshrrev_b32_e32 v13, v6, v11
	v_lshlrev_b32_e32 v8, v8, v12
	s_delay_alu instid0(VALU_DEP_2) | instskip(NEXT) | instid1(VALU_DEP_2)
	v_lshlrev_b32_e32 v6, v6, v13
	v_cmp_ne_u32_e32 vcc_lo, v8, v10
	v_lshl_or_b32 v10, v7, 12, v2
	s_wait_alu 0xfffd
	v_cndmask_b32_e64 v8, 0, 1, vcc_lo
	v_cmp_ne_u32_e32 vcc_lo, v6, v11
	v_lshl_or_b32 v11, v9, 12, v4
	s_delay_alu instid0(VALU_DEP_3) | instskip(SKIP_3) | instid1(VALU_DEP_2)
	v_or_b32_e32 v8, v12, v8
	s_wait_alu 0xfffd
	v_cndmask_b32_e64 v6, 0, 1, vcc_lo
	v_cmp_gt_i32_e32 vcc_lo, 1, v7
	v_or_b32_e32 v6, v13, v6
	s_wait_alu 0xfffd
	v_cndmask_b32_e32 v8, v10, v8, vcc_lo
	v_cmp_gt_i32_e32 vcc_lo, 1, v9
	s_delay_alu instid0(VALU_DEP_2)
	v_and_b32_e32 v10, 7, v8
	s_wait_alu 0xfffd
	v_cndmask_b32_e32 v6, v11, v6, vcc_lo
	v_cmp_ne_u32_e32 vcc_lo, 0, v2
	v_lshrrev_b32_e32 v8, 2, v8
	v_cmp_eq_u32_e64 s0, 3, v10
	s_delay_alu instid0(VALU_DEP_4)
	v_and_b32_e32 v11, 7, v6
	s_wait_alu 0xfffd
	v_cndmask_b32_e64 v2, 0, 1, vcc_lo
	v_cmp_ne_u32_e32 vcc_lo, 0, v4
	v_lshrrev_b32_e32 v6, 2, v6
	v_cmp_lt_i32_e64 s1, 5, v11
	v_cmp_eq_u32_e64 s2, 3, v11
	s_wait_alu 0xfffd
	v_cndmask_b32_e64 v4, 0, 1, vcc_lo
	v_cmp_lt_i32_e32 vcc_lo, 5, v10
	v_lshl_or_b32 v2, v2, 9, 0x7c00
	s_delay_alu instid0(VALU_DEP_3)
	v_lshl_or_b32 v4, v4, 9, 0x7c00
	s_or_b32 vcc_lo, s0, vcc_lo
	s_wait_alu 0xfffe
	v_add_co_ci_u32_e32 v8, vcc_lo, 0, v8, vcc_lo
	s_or_b32 vcc_lo, s2, s1
	s_wait_alu 0xfffe
	v_add_co_ci_u32_e32 v6, vcc_lo, 0, v6, vcc_lo
	v_cmp_gt_i32_e32 vcc_lo, 31, v7
	s_wait_alu 0xfffd
	v_cndmask_b32_e32 v8, 0x7c00, v8, vcc_lo
	v_cmp_gt_i32_e32 vcc_lo, 31, v9
	s_wait_alu 0xfffd
	v_cndmask_b32_e32 v6, 0x7c00, v6, vcc_lo
	v_cmp_eq_u32_e32 vcc_lo, 0x40f, v7
	s_wait_alu 0xfffd
	v_cndmask_b32_e32 v2, v8, v2, vcc_lo
	v_cmp_eq_u32_e32 vcc_lo, 0x40f, v9
	s_delay_alu instid0(VALU_DEP_2)
	v_and_or_b32 v2, 0x8000, v3, v2
	s_wait_alu 0xfffd
	v_cndmask_b32_e32 v4, v6, v4, vcc_lo
	v_add_co_u32 v0, vcc_lo, v0, s6
	s_wait_alu 0xfffd
	v_add_co_ci_u32_e32 v1, vcc_lo, s7, v1, vcc_lo
	s_delay_alu instid0(VALU_DEP_3) | instskip(SKIP_1) | instid1(VALU_DEP_1)
	v_and_or_b32 v3, 0x8000, v5, v4
	v_and_b32_e32 v2, 0xffff, v2
	v_lshl_or_b32 v2, v3, 16, v2
	global_store_b32 v[0:1], v2, off
.LBB0_15:
	s_nop 0
	s_sendmsg sendmsg(MSG_DEALLOC_VGPRS)
	s_endpgm
	.section	.rodata,"a",@progbits
	.p2align	6, 0x0
	.amdhsa_kernel bluestein_single_fwd_len165_dim1_half_op_CI_CI
		.amdhsa_group_segment_fixed_size 3300
		.amdhsa_private_segment_fixed_size 0
		.amdhsa_kernarg_size 104
		.amdhsa_user_sgpr_count 2
		.amdhsa_user_sgpr_dispatch_ptr 0
		.amdhsa_user_sgpr_queue_ptr 0
		.amdhsa_user_sgpr_kernarg_segment_ptr 1
		.amdhsa_user_sgpr_dispatch_id 0
		.amdhsa_user_sgpr_private_segment_size 0
		.amdhsa_wavefront_size32 1
		.amdhsa_uses_dynamic_stack 0
		.amdhsa_enable_private_segment 0
		.amdhsa_system_sgpr_workgroup_id_x 1
		.amdhsa_system_sgpr_workgroup_id_y 0
		.amdhsa_system_sgpr_workgroup_id_z 0
		.amdhsa_system_sgpr_workgroup_info 0
		.amdhsa_system_vgpr_workitem_id 0
		.amdhsa_next_free_vgpr 165
		.amdhsa_next_free_sgpr 16
		.amdhsa_reserve_vcc 1
		.amdhsa_float_round_mode_32 0
		.amdhsa_float_round_mode_16_64 0
		.amdhsa_float_denorm_mode_32 3
		.amdhsa_float_denorm_mode_16_64 3
		.amdhsa_fp16_overflow 0
		.amdhsa_workgroup_processor_mode 1
		.amdhsa_memory_ordered 1
		.amdhsa_forward_progress 0
		.amdhsa_round_robin_scheduling 0
		.amdhsa_exception_fp_ieee_invalid_op 0
		.amdhsa_exception_fp_denorm_src 0
		.amdhsa_exception_fp_ieee_div_zero 0
		.amdhsa_exception_fp_ieee_overflow 0
		.amdhsa_exception_fp_ieee_underflow 0
		.amdhsa_exception_fp_ieee_inexact 0
		.amdhsa_exception_int_div_zero 0
	.end_amdhsa_kernel
	.text
.Lfunc_end0:
	.size	bluestein_single_fwd_len165_dim1_half_op_CI_CI, .Lfunc_end0-bluestein_single_fwd_len165_dim1_half_op_CI_CI
                                        ; -- End function
	.section	.AMDGPU.csdata,"",@progbits
; Kernel info:
; codeLenInByte = 35408
; NumSgprs: 18
; NumVgprs: 165
; ScratchSize: 0
; MemoryBound: 0
; FloatMode: 240
; IeeeMode: 1
; LDSByteSize: 3300 bytes/workgroup (compile time only)
; SGPRBlocks: 2
; VGPRBlocks: 20
; NumSGPRsForWavesPerEU: 18
; NumVGPRsForWavesPerEU: 165
; Occupancy: 9
; WaveLimiterHint : 1
; COMPUTE_PGM_RSRC2:SCRATCH_EN: 0
; COMPUTE_PGM_RSRC2:USER_SGPR: 2
; COMPUTE_PGM_RSRC2:TRAP_HANDLER: 0
; COMPUTE_PGM_RSRC2:TGID_X_EN: 1
; COMPUTE_PGM_RSRC2:TGID_Y_EN: 0
; COMPUTE_PGM_RSRC2:TGID_Z_EN: 0
; COMPUTE_PGM_RSRC2:TIDIG_COMP_CNT: 0
	.text
	.p2alignl 7, 3214868480
	.fill 96, 4, 3214868480
	.type	__hip_cuid_cc822ea4a1221799,@object ; @__hip_cuid_cc822ea4a1221799
	.section	.bss,"aw",@nobits
	.globl	__hip_cuid_cc822ea4a1221799
__hip_cuid_cc822ea4a1221799:
	.byte	0                               ; 0x0
	.size	__hip_cuid_cc822ea4a1221799, 1

	.ident	"AMD clang version 19.0.0git (https://github.com/RadeonOpenCompute/llvm-project roc-6.4.0 25133 c7fe45cf4b819c5991fe208aaa96edf142730f1d)"
	.section	".note.GNU-stack","",@progbits
	.addrsig
	.addrsig_sym __hip_cuid_cc822ea4a1221799
	.amdgpu_metadata
---
amdhsa.kernels:
  - .args:
      - .actual_access:  read_only
        .address_space:  global
        .offset:         0
        .size:           8
        .value_kind:     global_buffer
      - .actual_access:  read_only
        .address_space:  global
        .offset:         8
        .size:           8
        .value_kind:     global_buffer
      - .actual_access:  read_only
        .address_space:  global
        .offset:         16
        .size:           8
        .value_kind:     global_buffer
      - .actual_access:  read_only
        .address_space:  global
        .offset:         24
        .size:           8
        .value_kind:     global_buffer
      - .actual_access:  read_only
        .address_space:  global
        .offset:         32
        .size:           8
        .value_kind:     global_buffer
      - .offset:         40
        .size:           8
        .value_kind:     by_value
      - .address_space:  global
        .offset:         48
        .size:           8
        .value_kind:     global_buffer
      - .address_space:  global
        .offset:         56
        .size:           8
        .value_kind:     global_buffer
      - .address_space:  global
        .offset:         64
        .size:           8
        .value_kind:     global_buffer
      - .address_space:  global
        .offset:         72
        .size:           8
        .value_kind:     global_buffer
      - .offset:         80
        .size:           4
        .value_kind:     by_value
      - .address_space:  global
        .offset:         88
        .size:           8
        .value_kind:     global_buffer
      - .address_space:  global
        .offset:         96
        .size:           8
        .value_kind:     global_buffer
    .group_segment_fixed_size: 3300
    .kernarg_segment_align: 8
    .kernarg_segment_size: 104
    .language:       OpenCL C
    .language_version:
      - 2
      - 0
    .max_flat_workgroup_size: 55
    .name:           bluestein_single_fwd_len165_dim1_half_op_CI_CI
    .private_segment_fixed_size: 0
    .sgpr_count:     18
    .sgpr_spill_count: 0
    .symbol:         bluestein_single_fwd_len165_dim1_half_op_CI_CI.kd
    .uniform_work_group_size: 1
    .uses_dynamic_stack: false
    .vgpr_count:     165
    .vgpr_spill_count: 0
    .wavefront_size: 32
    .workgroup_processor_mode: 1
amdhsa.target:   amdgcn-amd-amdhsa--gfx1201
amdhsa.version:
  - 1
  - 2
...

	.end_amdgpu_metadata
